;; amdgpu-corpus repo=ROCm/rocFFT kind=compiled arch=gfx1030 opt=O3
	.text
	.amdgcn_target "amdgcn-amd-amdhsa--gfx1030"
	.amdhsa_code_object_version 6
	.protected	fft_rtc_back_len2250_factors_10_3_5_3_5_wgs_90_tpt_90_halfLds_half_op_CI_CI_sbrr_dirReg ; -- Begin function fft_rtc_back_len2250_factors_10_3_5_3_5_wgs_90_tpt_90_halfLds_half_op_CI_CI_sbrr_dirReg
	.globl	fft_rtc_back_len2250_factors_10_3_5_3_5_wgs_90_tpt_90_halfLds_half_op_CI_CI_sbrr_dirReg
	.p2align	8
	.type	fft_rtc_back_len2250_factors_10_3_5_3_5_wgs_90_tpt_90_halfLds_half_op_CI_CI_sbrr_dirReg,@function
fft_rtc_back_len2250_factors_10_3_5_3_5_wgs_90_tpt_90_halfLds_half_op_CI_CI_sbrr_dirReg: ; @fft_rtc_back_len2250_factors_10_3_5_3_5_wgs_90_tpt_90_halfLds_half_op_CI_CI_sbrr_dirReg
; %bb.0:
	s_clause 0x2
	s_load_dwordx4 s[16:19], s[4:5], 0x18
	s_load_dwordx4 s[12:15], s[4:5], 0x0
	;; [unrolled: 1-line block ×3, first 2 shown]
	v_mul_u32_u24_e32 v1, 0x2d9, v0
	v_mov_b32_e32 v7, 0
	v_mov_b32_e32 v5, 0
	;; [unrolled: 1-line block ×3, first 2 shown]
	s_waitcnt lgkmcnt(0)
	s_load_dwordx2 s[20:21], s[16:17], 0x0
	s_load_dwordx2 s[2:3], s[18:19], 0x0
	v_cmp_lt_u64_e64 s0, s[14:15], 2
	v_add_nc_u32_sdwa v9, s6, v1 dst_sel:DWORD dst_unused:UNUSED_PAD src0_sel:DWORD src1_sel:WORD_1
	v_mov_b32_e32 v10, v7
	s_and_b32 vcc_lo, exec_lo, s0
	s_cbranch_vccnz .LBB0_8
; %bb.1:
	s_load_dwordx2 s[0:1], s[4:5], 0x10
	v_mov_b32_e32 v5, 0
	v_mov_b32_e32 v6, 0
	s_add_u32 s6, s18, 8
	s_addc_u32 s7, s19, 0
	v_mov_b32_e32 v1, v5
	s_add_u32 s22, s16, 8
	v_mov_b32_e32 v2, v6
	s_addc_u32 s23, s17, 0
	s_mov_b64 s[26:27], 1
	s_waitcnt lgkmcnt(0)
	s_add_u32 s24, s0, 8
	s_addc_u32 s25, s1, 0
.LBB0_2:                                ; =>This Inner Loop Header: Depth=1
	s_load_dwordx2 s[28:29], s[24:25], 0x0
                                        ; implicit-def: $vgpr3_vgpr4
	s_mov_b32 s0, exec_lo
	s_waitcnt lgkmcnt(0)
	v_or_b32_e32 v8, s29, v10
	v_cmpx_ne_u64_e32 0, v[7:8]
	s_xor_b32 s1, exec_lo, s0
	s_cbranch_execz .LBB0_4
; %bb.3:                                ;   in Loop: Header=BB0_2 Depth=1
	v_cvt_f32_u32_e32 v3, s28
	v_cvt_f32_u32_e32 v4, s29
	s_sub_u32 s0, 0, s28
	s_subb_u32 s30, 0, s29
	v_fmac_f32_e32 v3, 0x4f800000, v4
	v_rcp_f32_e32 v3, v3
	v_mul_f32_e32 v3, 0x5f7ffffc, v3
	v_mul_f32_e32 v4, 0x2f800000, v3
	v_trunc_f32_e32 v4, v4
	v_fmac_f32_e32 v3, 0xcf800000, v4
	v_cvt_u32_f32_e32 v4, v4
	v_cvt_u32_f32_e32 v3, v3
	v_mul_lo_u32 v8, s0, v4
	v_mul_hi_u32 v11, s0, v3
	v_mul_lo_u32 v12, s30, v3
	v_add_nc_u32_e32 v8, v11, v8
	v_mul_lo_u32 v11, s0, v3
	v_add_nc_u32_e32 v8, v8, v12
	v_mul_hi_u32 v12, v3, v11
	v_mul_lo_u32 v13, v3, v8
	v_mul_hi_u32 v14, v3, v8
	v_mul_hi_u32 v15, v4, v11
	v_mul_lo_u32 v11, v4, v11
	v_mul_hi_u32 v16, v4, v8
	v_mul_lo_u32 v8, v4, v8
	v_add_co_u32 v12, vcc_lo, v12, v13
	v_add_co_ci_u32_e32 v13, vcc_lo, 0, v14, vcc_lo
	v_add_co_u32 v11, vcc_lo, v12, v11
	v_add_co_ci_u32_e32 v11, vcc_lo, v13, v15, vcc_lo
	v_add_co_ci_u32_e32 v12, vcc_lo, 0, v16, vcc_lo
	v_add_co_u32 v8, vcc_lo, v11, v8
	v_add_co_ci_u32_e32 v11, vcc_lo, 0, v12, vcc_lo
	v_add_co_u32 v3, vcc_lo, v3, v8
	v_add_co_ci_u32_e32 v4, vcc_lo, v4, v11, vcc_lo
	v_mul_hi_u32 v8, s0, v3
	v_mul_lo_u32 v12, s30, v3
	v_mul_lo_u32 v11, s0, v4
	v_add_nc_u32_e32 v8, v8, v11
	v_mul_lo_u32 v11, s0, v3
	v_add_nc_u32_e32 v8, v8, v12
	v_mul_hi_u32 v12, v3, v11
	v_mul_lo_u32 v13, v3, v8
	v_mul_hi_u32 v14, v3, v8
	v_mul_hi_u32 v15, v4, v11
	v_mul_lo_u32 v11, v4, v11
	v_mul_hi_u32 v16, v4, v8
	v_mul_lo_u32 v8, v4, v8
	v_add_co_u32 v12, vcc_lo, v12, v13
	v_add_co_ci_u32_e32 v13, vcc_lo, 0, v14, vcc_lo
	v_add_co_u32 v11, vcc_lo, v12, v11
	v_add_co_ci_u32_e32 v11, vcc_lo, v13, v15, vcc_lo
	v_add_co_ci_u32_e32 v12, vcc_lo, 0, v16, vcc_lo
	v_add_co_u32 v8, vcc_lo, v11, v8
	v_add_co_ci_u32_e32 v11, vcc_lo, 0, v12, vcc_lo
	v_add_co_u32 v8, vcc_lo, v3, v8
	v_add_co_ci_u32_e32 v13, vcc_lo, v4, v11, vcc_lo
	v_mul_hi_u32 v15, v9, v8
	v_mad_u64_u32 v[11:12], null, v10, v8, 0
	v_mad_u64_u32 v[3:4], null, v9, v13, 0
	v_mad_u64_u32 v[13:14], null, v10, v13, 0
	v_add_co_u32 v3, vcc_lo, v15, v3
	v_add_co_ci_u32_e32 v4, vcc_lo, 0, v4, vcc_lo
	v_add_co_u32 v3, vcc_lo, v3, v11
	v_add_co_ci_u32_e32 v3, vcc_lo, v4, v12, vcc_lo
	v_add_co_ci_u32_e32 v4, vcc_lo, 0, v14, vcc_lo
	v_add_co_u32 v8, vcc_lo, v3, v13
	v_add_co_ci_u32_e32 v11, vcc_lo, 0, v4, vcc_lo
	v_mul_lo_u32 v12, s29, v8
	v_mad_u64_u32 v[3:4], null, s28, v8, 0
	v_mul_lo_u32 v13, s28, v11
	v_sub_co_u32 v3, vcc_lo, v9, v3
	v_add3_u32 v4, v4, v13, v12
	v_sub_nc_u32_e32 v12, v10, v4
	v_subrev_co_ci_u32_e64 v12, s0, s29, v12, vcc_lo
	v_add_co_u32 v13, s0, v8, 2
	v_add_co_ci_u32_e64 v14, s0, 0, v11, s0
	v_sub_co_u32 v15, s0, v3, s28
	v_sub_co_ci_u32_e32 v4, vcc_lo, v10, v4, vcc_lo
	v_subrev_co_ci_u32_e64 v12, s0, 0, v12, s0
	v_cmp_le_u32_e32 vcc_lo, s28, v15
	v_cmp_eq_u32_e64 s0, s29, v4
	v_cndmask_b32_e64 v15, 0, -1, vcc_lo
	v_cmp_le_u32_e32 vcc_lo, s29, v12
	v_cndmask_b32_e64 v16, 0, -1, vcc_lo
	v_cmp_le_u32_e32 vcc_lo, s28, v3
	;; [unrolled: 2-line block ×3, first 2 shown]
	v_cndmask_b32_e64 v17, 0, -1, vcc_lo
	v_cmp_eq_u32_e32 vcc_lo, s29, v12
	v_cndmask_b32_e64 v3, v17, v3, s0
	v_cndmask_b32_e32 v12, v16, v15, vcc_lo
	v_add_co_u32 v15, vcc_lo, v8, 1
	v_add_co_ci_u32_e32 v16, vcc_lo, 0, v11, vcc_lo
	v_cmp_ne_u32_e32 vcc_lo, 0, v12
	v_cndmask_b32_e32 v4, v16, v14, vcc_lo
	v_cndmask_b32_e32 v12, v15, v13, vcc_lo
	v_cmp_ne_u32_e32 vcc_lo, 0, v3
	v_cndmask_b32_e32 v4, v11, v4, vcc_lo
	v_cndmask_b32_e32 v3, v8, v12, vcc_lo
.LBB0_4:                                ;   in Loop: Header=BB0_2 Depth=1
	s_andn2_saveexec_b32 s0, s1
	s_cbranch_execz .LBB0_6
; %bb.5:                                ;   in Loop: Header=BB0_2 Depth=1
	v_cvt_f32_u32_e32 v3, s28
	s_sub_i32 s1, 0, s28
	v_rcp_iflag_f32_e32 v3, v3
	v_mul_f32_e32 v3, 0x4f7ffffe, v3
	v_cvt_u32_f32_e32 v3, v3
	v_mul_lo_u32 v4, s1, v3
	v_mul_hi_u32 v4, v3, v4
	v_add_nc_u32_e32 v3, v3, v4
	v_mul_hi_u32 v3, v9, v3
	v_mul_lo_u32 v4, v3, s28
	v_add_nc_u32_e32 v8, 1, v3
	v_sub_nc_u32_e32 v4, v9, v4
	v_subrev_nc_u32_e32 v11, s28, v4
	v_cmp_le_u32_e32 vcc_lo, s28, v4
	v_cndmask_b32_e32 v4, v4, v11, vcc_lo
	v_cndmask_b32_e32 v3, v3, v8, vcc_lo
	v_cmp_le_u32_e32 vcc_lo, s28, v4
	v_add_nc_u32_e32 v8, 1, v3
	v_mov_b32_e32 v4, v7
	v_cndmask_b32_e32 v3, v3, v8, vcc_lo
.LBB0_6:                                ;   in Loop: Header=BB0_2 Depth=1
	s_or_b32 exec_lo, exec_lo, s0
	v_mul_lo_u32 v8, v4, s28
	v_mul_lo_u32 v13, v3, s29
	s_load_dwordx2 s[0:1], s[22:23], 0x0
	v_mad_u64_u32 v[11:12], null, v3, s28, 0
	s_load_dwordx2 s[28:29], s[6:7], 0x0
	s_add_u32 s26, s26, 1
	s_addc_u32 s27, s27, 0
	s_add_u32 s6, s6, 8
	s_addc_u32 s7, s7, 0
	s_add_u32 s22, s22, 8
	v_add3_u32 v8, v12, v13, v8
	v_sub_co_u32 v9, vcc_lo, v9, v11
	s_addc_u32 s23, s23, 0
	s_add_u32 s24, s24, 8
	v_sub_co_ci_u32_e32 v8, vcc_lo, v10, v8, vcc_lo
	s_addc_u32 s25, s25, 0
	s_waitcnt lgkmcnt(0)
	v_mul_lo_u32 v10, s0, v8
	v_mul_lo_u32 v11, s1, v9
	v_mad_u64_u32 v[5:6], null, s0, v9, v[5:6]
	v_mul_lo_u32 v8, s28, v8
	v_mul_lo_u32 v12, s29, v9
	v_mad_u64_u32 v[1:2], null, s28, v9, v[1:2]
	v_cmp_ge_u64_e64 s0, s[26:27], s[14:15]
	v_add3_u32 v6, v11, v6, v10
	v_add3_u32 v2, v12, v2, v8
	s_and_b32 vcc_lo, exec_lo, s0
	s_cbranch_vccnz .LBB0_9
; %bb.7:                                ;   in Loop: Header=BB0_2 Depth=1
	v_mov_b32_e32 v10, v4
	v_mov_b32_e32 v9, v3
	s_branch .LBB0_2
.LBB0_8:
	v_mov_b32_e32 v1, v5
	v_mov_b32_e32 v3, v9
	;; [unrolled: 1-line block ×4, first 2 shown]
.LBB0_9:
	s_load_dwordx2 s[0:1], s[4:5], 0x28
	v_mul_hi_u32 v69, 0x2d82d83, v0
	s_lshl_b64 s[6:7], s[14:15], 3
                                        ; implicit-def: $vgpr7
                                        ; implicit-def: $vgpr8
	s_add_u32 s4, s18, s6
	s_addc_u32 s5, s19, s7
	s_waitcnt lgkmcnt(0)
	v_cmp_gt_u64_e32 vcc_lo, s[0:1], v[3:4]
	v_cmp_le_u64_e64 s0, s[0:1], v[3:4]
	s_and_saveexec_b32 s1, s0
	s_xor_b32 s0, exec_lo, s1
; %bb.10:
	v_mul_u32_u24_e32 v5, 0x5a, v69
                                        ; implicit-def: $vgpr69
	v_sub_nc_u32_e32 v7, v0, v5
                                        ; implicit-def: $vgpr0
                                        ; implicit-def: $vgpr5_vgpr6
	v_add_nc_u32_e32 v8, 0x5a, v7
; %bb.11:
	s_or_saveexec_b32 s1, s0
	s_load_dwordx2 s[4:5], s[4:5], 0x0
                                        ; implicit-def: $vgpr24
                                        ; implicit-def: $vgpr60
                                        ; implicit-def: $vgpr23
                                        ; implicit-def: $vgpr33
                                        ; implicit-def: $vgpr25
                                        ; implicit-def: $vgpr61
                                        ; implicit-def: $vgpr22
                                        ; implicit-def: $vgpr31
                                        ; implicit-def: $vgpr26
                                        ; implicit-def: $vgpr62
                                        ; implicit-def: $vgpr21
                                        ; implicit-def: $vgpr30
                                        ; implicit-def: $vgpr28
                                        ; implicit-def: $vgpr63
                                        ; implicit-def: $vgpr20
                                        ; implicit-def: $vgpr32
                                        ; implicit-def: $vgpr27
                                        ; implicit-def: $vgpr16
                                        ; implicit-def: $vgpr14
                                        ; implicit-def: $vgpr53
                                        ; implicit-def: $vgpr35
                                        ; implicit-def: $vgpr58
                                        ; implicit-def: $vgpr38
                                        ; implicit-def: $vgpr18
                                        ; implicit-def: $vgpr36
                                        ; implicit-def: $vgpr56
                                        ; implicit-def: $vgpr39
                                        ; implicit-def: $vgpr15
                                        ; implicit-def: $vgpr37
                                        ; implicit-def: $vgpr57
                                        ; implicit-def: $vgpr40
                                        ; implicit-def: $vgpr17
                                        ; implicit-def: $vgpr42
                                        ; implicit-def: $vgpr59
                                        ; implicit-def: $vgpr41
                                        ; implicit-def: $vgpr19
                                        ; implicit-def: $vgpr43
                                        ; implicit-def: $vgpr11
                                        ; implicit-def: $vgpr34
                                        ; implicit-def: $vgpr45
                                        ; implicit-def: $vgpr46
                                        ; implicit-def: $vgpr68
                                        ; implicit-def: $vgpr49
                                        ; implicit-def: $vgpr29
                                        ; implicit-def: $vgpr47
                                        ; implicit-def: $vgpr65
                                        ; implicit-def: $vgpr50
                                        ; implicit-def: $vgpr10
                                        ; implicit-def: $vgpr48
                                        ; implicit-def: $vgpr66
                                        ; implicit-def: $vgpr51
                                        ; implicit-def: $vgpr12
                                        ; implicit-def: $vgpr54
                                        ; implicit-def: $vgpr67
                                        ; implicit-def: $vgpr52
                                        ; implicit-def: $vgpr13
                                        ; implicit-def: $vgpr55
                                        ; implicit-def: $vgpr9
                                        ; implicit-def: $vgpr44
                                        ; implicit-def: $vgpr64
	s_xor_b32 exec_lo, exec_lo, s1
	s_cbranch_execz .LBB0_15
; %bb.12:
	s_add_u32 s6, s16, s6
	s_addc_u32 s7, s17, s7
	v_mul_u32_u24_e32 v7, 0x5a, v69
	s_load_dwordx2 s[6:7], s[6:7], 0x0
	v_lshlrev_b64 v[5:6], 2, v[5:6]
                                        ; implicit-def: $vgpr53
                                        ; implicit-def: $vgpr63
                                        ; implicit-def: $vgpr62
                                        ; implicit-def: $vgpr61
                                        ; implicit-def: $vgpr60
	v_sub_nc_u32_e32 v7, v0, v7
	v_mad_u64_u32 v[8:9], null, s20, v7, 0
	v_add_nc_u32_e32 v19, 0xe1, v7
	v_add_nc_u32_e32 v22, 0x1c2, v7
	;; [unrolled: 1-line block ×5, first 2 shown]
	v_mad_u64_u32 v[10:11], null, s20, v19, 0
	v_mov_b32_e32 v0, v9
	v_mad_u64_u32 v[12:13], null, s20, v22, 0
	s_waitcnt lgkmcnt(0)
	v_mul_lo_u32 v9, s7, v3
	v_mul_lo_u32 v20, s6, v4
	v_mad_u64_u32 v[14:15], null, s6, v3, 0
	v_mad_u64_u32 v[16:17], null, s21, v7, v[0:1]
	v_mov_b32_e32 v0, v11
	v_mov_b32_e32 v11, v13
	v_mad_u64_u32 v[17:18], null, s20, v23, 0
	v_add3_u32 v15, v15, v20, v9
	v_mad_u64_u32 v[19:20], null, s21, v19, v[0:1]
	v_mov_b32_e32 v9, v16
	v_mad_u64_u32 v[20:21], null, s20, v24, 0
	v_lshlrev_b64 v[13:14], 2, v[14:15]
	v_mad_u64_u32 v[15:16], null, s21, v22, v[11:12]
	v_lshlrev_b64 v[8:9], 2, v[8:9]
	v_mov_b32_e32 v16, v18
	v_mov_b32_e32 v11, v19
	v_add_co_u32 v0, s0, s8, v13
	v_add_co_ci_u32_e64 v14, s0, s9, v14, s0
	v_mov_b32_e32 v13, v15
	v_add_co_u32 v0, s0, v0, v5
	v_add_co_ci_u32_e64 v5, s0, v14, v6, s0
	;; [unrolled: 3-line block ×3, first 2 shown]
	v_mad_u64_u32 v[8:9], null, s21, v23, v[16:17]
	v_mad_u64_u32 v[22:23], null, s20, v26, 0
	v_lshlrev_b64 v[10:11], 2, v[10:11]
	v_mad_u64_u32 v[24:25], null, s21, v24, v[6:7]
	v_add_nc_u32_e32 v39, 0x681, v7
	v_mov_b32_e32 v18, v8
	v_add_nc_u32_e32 v8, 0x546, v7
	v_add_co_u32 v9, s0, v0, v10
	v_mov_b32_e32 v6, v23
	v_lshlrev_b64 v[16:17], 2, v[17:18]
	v_mad_u64_u32 v[18:19], null, s20, v8, 0
	v_add_co_ci_u32_e64 v10, s0, v5, v11, s0
	v_lshlrev_b64 v[11:12], 2, v[12:13]
	v_add_nc_u32_e32 v13, 0x627, v7
	v_mov_b32_e32 v21, v24
	v_mad_u64_u32 v[23:24], null, s21, v26, v[6:7]
	v_mov_b32_e32 v6, v19
	v_mad_u64_u32 v[24:25], null, s20, v13, 0
	v_add_co_u32 v11, s0, v0, v11
	v_mad_u64_u32 v[26:27], null, s21, v8, v[6:7]
	v_add_nc_u32_e32 v8, 0x708, v7
	v_lshlrev_b64 v[20:21], 2, v[20:21]
	v_mov_b32_e32 v6, v25
	v_add_co_ci_u32_e64 v12, s0, v5, v12, s0
	v_add_co_u32 v16, s0, v0, v16
	v_mov_b32_e32 v19, v26
	v_mad_u64_u32 v[25:26], null, s21, v13, v[6:7]
	v_mad_u64_u32 v[26:27], null, s20, v8, 0
	v_add_nc_u32_e32 v13, 0x7e9, v7
	v_lshlrev_b64 v[22:23], 2, v[22:23]
	v_add_co_ci_u32_e64 v17, s0, v5, v17, s0
	v_add_co_u32 v20, s0, v0, v20
	v_mov_b32_e32 v6, v27
	v_mad_u64_u32 v[28:29], null, s20, v13, 0
	v_lshlrev_b64 v[18:19], 2, v[18:19]
	v_add_co_ci_u32_e64 v21, s0, v5, v21, s0
	v_mad_u64_u32 v[30:31], null, s21, v8, v[6:7]
	v_add_co_u32 v22, s0, v0, v22
	v_mov_b32_e32 v6, v29
	v_lshlrev_b64 v[24:25], 2, v[24:25]
	v_add_nc_u32_e32 v8, 0x5a, v7
	v_add_co_ci_u32_e64 v23, s0, v5, v23, s0
	v_add_co_u32 v18, s0, v0, v18
	v_mov_b32_e32 v27, v30
	v_mad_u64_u32 v[29:30], null, s21, v13, v[6:7]
	v_add_co_ci_u32_e64 v19, s0, v5, v19, s0
	v_mad_u64_u32 v[30:31], null, s20, v8, 0
	v_add_co_u32 v24, s0, v0, v24
	v_add_co_ci_u32_e64 v25, s0, v5, v25, s0
	s_clause 0x7
	global_load_dword v64, v[14:15], off
	global_load_dword v9, v[9:10], off
	;; [unrolled: 1-line block ×8, first 2 shown]
	v_add_nc_u32_e32 v11, 0x13b, v7
	v_mov_b32_e32 v6, v31
	v_lshlrev_b64 v[14:15], 2, v[26:27]
	v_add_nc_u32_e32 v27, 0x21c, v7
	v_mad_u64_u32 v[16:17], null, s20, v11, 0
	v_mad_u64_u32 v[18:19], null, s21, v8, v[6:7]
	;; [unrolled: 1-line block ×3, first 2 shown]
	v_lshlrev_b64 v[19:20], 2, v[28:29]
	v_add_co_u32 v14, s0, v0, v14
	v_mov_b32_e32 v6, v17
	v_mov_b32_e32 v31, v18
	v_add_co_ci_u32_e64 v15, s0, v5, v15, s0
	v_mad_u64_u32 v[17:18], null, s21, v11, v[6:7]
	v_add_nc_u32_e32 v11, 0x2fd, v7
	v_mov_b32_e32 v6, v22
	v_lshlrev_b64 v[23:24], 2, v[30:31]
	v_add_nc_u32_e32 v30, 0x3de, v7
	v_add_co_u32 v18, s0, v0, v19
	v_mad_u64_u32 v[25:26], null, s20, v11, 0
	v_mad_u64_u32 v[27:28], null, s21, v27, v[6:7]
	;; [unrolled: 1-line block ×3, first 2 shown]
	v_add_co_ci_u32_e64 v19, s0, v5, v20, s0
	v_mov_b32_e32 v6, v26
	v_lshlrev_b64 v[16:17], 2, v[16:17]
	v_mov_b32_e32 v22, v27
	v_add_co_u32 v23, s0, v0, v23
	v_mad_u64_u32 v[26:27], null, s21, v11, v[6:7]
	v_mov_b32_e32 v6, v29
	v_add_nc_u32_e32 v11, 0x4bf, v7
	v_lshlrev_b64 v[20:21], 2, v[21:22]
	v_add_nc_u32_e32 v22, 0x5a0, v7
	v_add_co_ci_u32_e64 v24, s0, v5, v24, s0
	v_mad_u64_u32 v[29:30], null, s21, v30, v[6:7]
	v_mad_u64_u32 v[30:31], null, s20, v11, 0
	;; [unrolled: 1-line block ×3, first 2 shown]
	v_add_co_u32 v16, s0, v0, v16
	v_lshlrev_b64 v[25:26], 2, v[25:26]
	v_add_co_ci_u32_e64 v17, s0, v5, v17, s0
	v_mov_b32_e32 v6, v31
	v_add_co_u32 v20, s0, v0, v20
	v_lshlrev_b64 v[27:28], 2, v[28:29]
	v_add_co_ci_u32_e64 v21, s0, v5, v21, s0
	v_mad_u64_u32 v[34:35], null, s21, v11, v[6:7]
	v_mad_u64_u32 v[35:36], null, s20, v39, 0
	v_mov_b32_e32 v6, v33
	v_add_nc_u32_e32 v11, 0x762, v7
	v_add_co_u32 v25, s0, v0, v25
	v_mov_b32_e32 v31, v34
	v_mad_u64_u32 v[33:34], null, s21, v22, v[6:7]
	v_mov_b32_e32 v6, v36
	v_add_nc_u32_e32 v22, 0x843, v7
	v_mad_u64_u32 v[37:38], null, s20, v11, 0
	v_lshlrev_b64 v[29:30], 2, v[30:31]
	v_mad_u64_u32 v[39:40], null, s21, v39, v[6:7]
	v_mad_u64_u32 v[40:41], null, s20, v22, 0
	v_add_co_ci_u32_e64 v26, s0, v5, v26, s0
	v_mov_b32_e32 v6, v38
	v_add_co_u32 v27, s0, v0, v27
	v_mov_b32_e32 v36, v39
	v_add_co_ci_u32_e64 v28, s0, v5, v28, s0
	v_mad_u64_u32 v[38:39], null, s21, v11, v[6:7]
	v_mov_b32_e32 v6, v41
	v_add_co_u32 v42, s0, v0, v29
	v_add_co_ci_u32_e64 v43, s0, v5, v30, s0
	v_lshlrev_b64 v[29:30], 2, v[32:33]
	v_mad_u64_u32 v[31:32], null, s21, v22, v[6:7]
	v_lshlrev_b64 v[32:33], 2, v[35:36]
                                        ; implicit-def: $vgpr22
	v_add_co_u32 v34, s0, v0, v29
	v_add_co_ci_u32_e64 v35, s0, v5, v30, s0
	v_mov_b32_e32 v41, v31
	v_lshlrev_b64 v[29:30], 2, v[37:38]
	v_add_co_u32 v31, s0, v0, v32
	v_add_co_ci_u32_e64 v32, s0, v5, v33, s0
	v_lshlrev_b64 v[36:37], 2, v[40:41]
	v_add_co_u32 v38, s0, v0, v29
	v_add_co_ci_u32_e64 v39, s0, v5, v30, s0
                                        ; implicit-def: $vgpr30
                                        ; implicit-def: $vgpr33
	v_add_co_u32 v36, s0, v0, v36
	v_add_co_ci_u32_e64 v37, s0, v5, v37, s0
	s_clause 0xb
	global_load_dword v29, v[14:15], off
	global_load_dword v68, v[18:19], off
	;; [unrolled: 1-line block ×12, first 2 shown]
	v_cmp_gt_u32_e64 s0, 45, v7
                                        ; implicit-def: $vgpr14
                                        ; implicit-def: $vgpr16
                                        ; implicit-def: $vgpr27
                                        ; implicit-def: $vgpr32
                                        ; implicit-def: $vgpr20
                                        ; implicit-def: $vgpr28
                                        ; implicit-def: $vgpr21
                                        ; implicit-def: $vgpr26
                                        ; implicit-def: $vgpr31
                                        ; implicit-def: $vgpr25
                                        ; implicit-def: $vgpr23
                                        ; implicit-def: $vgpr24
	s_and_saveexec_b32 s6, s0
	s_cbranch_execz .LBB0_14
; %bb.13:
	v_add_nc_u32_e32 v16, 0xb4, v7
	v_add_nc_u32_e32 v30, 0x195, v7
	;; [unrolled: 1-line block ×4, first 2 shown]
	v_mad_u64_u32 v[20:21], null, s20, v16, 0
	v_mad_u64_u32 v[22:23], null, s20, v30, 0
	;; [unrolled: 1-line block ×3, first 2 shown]
	v_mov_b32_e32 v6, v21
	v_mov_b32_e32 v14, v23
	v_mad_u64_u32 v[26:27], null, s21, v16, v[6:7]
	v_mad_u64_u32 v[27:28], null, s20, v34, 0
	v_mov_b32_e32 v6, v25
	s_waitcnt vmcnt(3)
	v_mad_u64_u32 v[30:31], null, s21, v30, v[14:15]
	v_add_nc_u32_e32 v14, 0x438, v7
	v_add_nc_u32_e32 v16, 0x519, v7
	v_mad_u64_u32 v[31:32], null, s21, v32, v[6:7]
	v_mov_b32_e32 v6, v28
	v_mad_u64_u32 v[32:33], null, s20, v14, 0
	v_mov_b32_e32 v23, v30
	v_mov_b32_e32 v21, v26
	v_mad_u64_u32 v[34:35], null, s21, v34, v[6:7]
	v_mov_b32_e32 v25, v31
	v_lshlrev_b64 v[22:23], 2, v[22:23]
	v_mov_b32_e32 v6, v33
	v_lshlrev_b64 v[20:21], 2, v[20:21]
	v_lshlrev_b64 v[24:25], 2, v[24:25]
	v_mov_b32_e32 v28, v34
	v_mad_u64_u32 v[34:35], null, s20, v16, 0
	v_mad_u64_u32 v[30:31], null, s21, v14, v[6:7]
	v_add_nc_u32_e32 v14, 0x5fa, v7
	v_lshlrev_b64 v[26:27], 2, v[27:28]
	v_add_nc_u32_e32 v28, 0x6db, v7
	v_add_co_u32 v20, s0, v0, v20
	v_mov_b32_e32 v6, v35
	v_mov_b32_e32 v33, v30
	v_mad_u64_u32 v[30:31], null, s20, v14, 0
	v_add_co_ci_u32_e64 v21, s0, v5, v21, s0
	v_mad_u64_u32 v[35:36], null, s21, v16, v[6:7]
	v_mad_u64_u32 v[36:37], null, s20, v28, 0
	v_mov_b32_e32 v6, v31
	v_add_nc_u32_e32 v16, 0x7bc, v7
	v_add_co_u32 v22, s0, v0, v22
	v_add_co_ci_u32_e64 v23, s0, v5, v23, s0
	v_mad_u64_u32 v[38:39], null, s21, v14, v[6:7]
	v_mov_b32_e32 v6, v37
	v_add_nc_u32_e32 v14, 0x89d, v7
	v_mad_u64_u32 v[39:40], null, s20, v16, 0
	v_add_co_u32 v24, s0, v0, v24
	v_lshlrev_b64 v[31:32], 2, v[32:33]
	v_add_co_ci_u32_e64 v25, s0, v5, v25, s0
	v_mad_u64_u32 v[41:42], null, s21, v28, v[6:7]
	v_add_co_u32 v26, s0, v0, v26
	v_mad_u64_u32 v[42:43], null, s20, v14, 0
	v_add_co_ci_u32_e64 v27, s0, v5, v27, s0
	v_add_co_u32 v46, s0, v0, v31
	v_mov_b32_e32 v6, v40
	v_add_co_ci_u32_e64 v47, s0, v5, v32, s0
	v_lshlrev_b64 v[32:33], 2, v[34:35]
	v_mov_b32_e32 v31, v38
	v_mad_u64_u32 v[34:35], null, s21, v16, v[6:7]
	v_mov_b32_e32 v6, v43
	v_mov_b32_e32 v37, v41
	v_add_co_u32 v48, s0, v0, v32
	v_add_co_ci_u32_e64 v49, s0, v5, v33, s0
	v_mad_u64_u32 v[32:33], null, s21, v14, v[6:7]
	v_lshlrev_b64 v[30:31], 2, v[30:31]
	v_mov_b32_e32 v40, v34
	v_lshlrev_b64 v[35:36], 2, v[36:37]
	v_add_co_u32 v33, s0, v0, v30
	v_mov_b32_e32 v43, v32
	v_add_co_ci_u32_e64 v34, s0, v5, v31, s0
	v_lshlrev_b64 v[30:31], 2, v[39:40]
	v_add_co_u32 v35, s0, v0, v35
	v_lshlrev_b64 v[37:38], 2, v[42:43]
	v_add_co_ci_u32_e64 v36, s0, v5, v36, s0
	v_add_co_u32 v39, s0, v0, v30
	v_add_co_ci_u32_e64 v40, s0, v5, v31, s0
	v_add_co_u32 v37, s0, v0, v37
	v_add_co_ci_u32_e64 v38, s0, v5, v38, s0
	s_clause 0x9
	global_load_dword v53, v[20:21], off
	global_load_dword v16, v[22:23], off
	global_load_dword v32, v[24:25], off
	global_load_dword v63, v[26:27], off
	global_load_dword v30, v[46:47], off
	global_load_dword v62, v[48:49], off
	global_load_dword v31, v[33:34], off
	global_load_dword v61, v[35:36], off
	global_load_dword v33, v[39:40], off
	global_load_dword v60, v[37:38], off
	s_waitcnt vmcnt(9)
	v_lshrrev_b32_e32 v14, 16, v53
	s_waitcnt vmcnt(8)
	v_lshrrev_b32_e32 v27, 16, v16
	;; [unrolled: 2-line block ×10, first 2 shown]
.LBB0_14:
	s_or_b32 exec_lo, exec_lo, s6
	s_waitcnt vmcnt(19)
	v_lshrrev_b32_e32 v44, 16, v64
	s_waitcnt vmcnt(18)
	v_lshrrev_b32_e32 v55, 16, v9
	;; [unrolled: 2-line block ×20, first 2 shown]
.LBB0_15:
	s_or_b32 exec_lo, exec_lo, s1
	v_add_f16_e32 v5, v13, v64
	v_add_f16_e32 v0, v10, v12
	v_sub_f16_e32 v70, v13, v12
	v_sub_f16_e32 v71, v29, v10
	v_add_f16_e32 v72, v29, v13
	v_add_f16_e32 v5, v12, v5
	v_sub_f16_e32 v69, v52, v49
	v_sub_f16_e32 v6, v51, v50
	v_fma_f16 v0, -0.5, v0, v64
	v_sub_f16_e32 v73, v12, v13
	v_add_f16_e32 v70, v71, v70
	v_fmac_f16_e32 v64, -0.5, v72
	v_add_f16_e32 v5, v10, v5
	v_add_f16_e32 v71, v65, v66
	v_sub_f16_e32 v76, v10, v29
	v_fmamk_f16 v74, v69, 0xbb9c, v0
	v_fmac_f16_e32 v0, 0x3b9c, v69
	v_fmamk_f16 v72, v6, 0x3b9c, v64
	v_add_f16_e32 v75, v29, v5
	v_fma_f16 v5, -0.5, v71, v9
	v_add_f16_e32 v71, v76, v73
	v_fmac_f16_e32 v64, 0xbb9c, v6
	v_add_f16_e32 v73, v67, v9
	v_fmac_f16_e32 v74, 0xb8b4, v6
	v_fmac_f16_e32 v0, 0x38b4, v6
	v_fmac_f16_e32 v72, 0xb8b4, v69
	v_sub_f16_e32 v77, v67, v66
	v_sub_f16_e32 v78, v68, v65
	v_fmac_f16_e32 v64, 0x38b4, v69
	v_add_f16_e32 v69, v66, v73
	v_add_f16_e32 v73, v68, v67
	v_fmac_f16_e32 v74, 0x34f2, v70
	v_fmac_f16_e32 v0, 0x34f2, v70
	v_sub_f16_e32 v70, v54, v46
	v_add_f16_e32 v77, v78, v77
	v_fmac_f16_e32 v72, 0x34f2, v71
	v_fmac_f16_e32 v64, 0x34f2, v71
	v_fmac_f16_e32 v9, -0.5, v73
	v_add_f16_e32 v71, v47, v48
	v_sub_f16_e32 v73, v66, v67
	v_sub_f16_e32 v78, v65, v68
	v_fmamk_f16 v6, v70, 0xbb9c, v5
	v_sub_f16_e32 v76, v48, v47
	v_fmac_f16_e32 v5, 0x3b9c, v70
	v_fma_f16 v81, -0.5, v71, v55
	v_add_f16_e32 v71, v78, v73
	v_add_f16_e32 v73, v46, v54
	v_fmac_f16_e32 v6, 0xb8b4, v76
	v_add_f16_e32 v69, v65, v69
	v_fmac_f16_e32 v5, 0x38b4, v76
	v_sub_f16_e32 v65, v66, v65
	v_fma_f16 v84, -0.5, v73, v55
	v_fmac_f16_e32 v6, 0x34f2, v77
	v_fmamk_f16 v82, v76, 0x3b9c, v9
	v_sub_f16_e32 v67, v67, v68
	v_fmac_f16_e32 v5, 0x34f2, v77
	v_fmac_f16_e32 v9, 0xbb9c, v76
	v_sub_f16_e32 v66, v54, v48
	v_sub_f16_e32 v73, v46, v47
	v_fmamk_f16 v85, v65, 0xbb9c, v84
	v_sub_f16_e32 v76, v48, v54
	v_sub_f16_e32 v77, v47, v46
	v_fmac_f16_e32 v84, 0x3b9c, v65
	v_fmamk_f16 v83, v67, 0x3b9c, v81
	v_fmac_f16_e32 v81, 0xbb9c, v67
	v_add_f16_e32 v66, v73, v66
	v_fmac_f16_e32 v85, 0x38b4, v67
	v_add_f16_e32 v73, v77, v76
	v_fmac_f16_e32 v84, 0xb8b4, v67
	v_fmac_f16_e32 v82, 0xb8b4, v70
	;; [unrolled: 1-line block ×11, first 2 shown]
	v_mul_f16_e32 v66, 0xbb9c, v85
	v_mul_f16_e32 v67, 0xbb9c, v84
	;; [unrolled: 1-line block ×4, first 2 shown]
	v_add_f16_e32 v78, v15, v17
	v_fmac_f16_e32 v66, 0x34f2, v82
	v_fmac_f16_e32 v67, 0xb4f2, v9
	v_add_f16_e32 v68, v68, v69
	v_fmac_f16_e32 v65, 0x3a79, v6
	v_fmac_f16_e32 v70, 0xba79, v5
	v_add_f16_e32 v73, v72, v66
	v_add_f16_e32 v76, v64, v67
	v_sub_f16_e32 v66, v72, v66
	v_sub_f16_e32 v64, v64, v67
	v_fma_f16 v67, -0.5, v78, v45
	v_sub_f16_e32 v72, v41, v38
	v_add_f16_e32 v69, v68, v75
	v_add_f16_e32 v71, v74, v65
	;; [unrolled: 1-line block ×3, first 2 shown]
	v_sub_f16_e32 v68, v75, v68
	v_sub_f16_e32 v65, v74, v65
	;; [unrolled: 1-line block ×5, first 2 shown]
	v_add_f16_e32 v75, v18, v19
	v_fmamk_f16 v78, v72, 0xbb9c, v67
	v_sub_f16_e32 v79, v40, v39
	v_fmac_f16_e32 v67, 0x3b9c, v72
	v_add_f16_e32 v70, v74, v70
	v_add_f16_e32 v74, v19, v45
	v_fmac_f16_e32 v45, -0.5, v75
	v_fmac_f16_e32 v78, 0xb8b4, v79
	v_fmac_f16_e32 v67, 0x38b4, v79
	v_sub_f16_e32 v75, v17, v19
	v_sub_f16_e32 v80, v15, v18
	v_fmamk_f16 v90, v79, 0x3b9c, v45
	v_fmac_f16_e32 v78, 0x34f2, v70
	v_fmac_f16_e32 v67, 0x34f2, v70
	;; [unrolled: 1-line block ×3, first 2 shown]
	v_add_f16_e32 v70, v80, v75
	v_sub_f16_e32 v79, v59, v57
	v_sub_f16_e32 v80, v58, v56
	v_fmac_f16_e32 v90, 0xb8b4, v72
	v_fmac_f16_e32 v45, 0x38b4, v72
	v_add_f16_e32 v75, v56, v57
	v_add_f16_e32 v72, v58, v59
	;; [unrolled: 1-line block ×4, first 2 shown]
	v_fmac_f16_e32 v90, 0x34f2, v70
	v_fmac_f16_e32 v45, 0x34f2, v70
	v_fma_f16 v86, -0.5, v75, v11
	v_sub_f16_e32 v75, v42, v35
	v_add_f16_e32 v70, v57, v80
	v_fmac_f16_e32 v11, -0.5, v72
	v_sub_f16_e32 v72, v37, v36
	v_sub_f16_e32 v89, v57, v59
	v_fmamk_f16 v87, v75, 0xbb9c, v86
	v_add_f16_e32 v70, v56, v70
	v_fmac_f16_e32 v86, 0x3b9c, v75
	v_sub_f16_e32 v91, v56, v58
	v_fmamk_f16 v88, v72, 0x3b9c, v11
	v_fmac_f16_e32 v11, 0xbb9c, v72
	v_add_f16_e32 v70, v58, v70
	v_sub_f16_e32 v58, v59, v58
	v_add_f16_e32 v59, v35, v42
	v_fmac_f16_e32 v87, 0xb8b4, v72
	v_fmac_f16_e32 v86, 0x38b4, v72
	v_add_f16_e32 v72, v91, v89
	v_fmac_f16_e32 v88, 0xb8b4, v75
	v_fmac_f16_e32 v11, 0x38b4, v75
	v_mul_u32_u24_e32 v75, 10, v7
	v_sub_f16_e32 v56, v57, v56
	v_add_f16_e32 v57, v36, v37
	v_fma_f16 v94, -0.5, v59, v43
	v_fmac_f16_e32 v88, 0x34f2, v72
	v_fmac_f16_e32 v11, 0x34f2, v72
	v_pack_b32_f16 v72, v73, v76
	v_pack_b32_f16 v69, v69, v71
	v_lshl_add_u32 v89, v75, 1, 0
	v_sub_f16_e32 v71, v37, v42
	v_fma_f16 v93, -0.5, v57, v43
	v_sub_f16_e32 v57, v36, v35
	v_fmamk_f16 v92, v56, 0xbb9c, v94
	v_fmac_f16_e32 v94, 0x3b9c, v56
	ds_write2_b32 v89, v69, v72 offset1:1
	v_sub_f16_e32 v69, v42, v37
	v_sub_f16_e32 v59, v35, v36
	v_fmamk_f16 v95, v58, 0x3b9c, v93
	v_add_f16_e32 v57, v57, v71
	v_fmac_f16_e32 v92, 0x38b4, v58
	v_fmac_f16_e32 v94, 0xb8b4, v58
	;; [unrolled: 1-line block ×3, first 2 shown]
	v_add_f16_e32 v59, v59, v69
	v_add_f16_e32 v69, v17, v74
	v_fmac_f16_e32 v95, 0x38b4, v56
	v_fmac_f16_e32 v92, 0x34f2, v57
	v_pack_b32_f16 v58, v65, v66
	v_pack_b32_f16 v66, v77, v68
	v_fmac_f16_e32 v94, 0x34f2, v57
	v_fmac_f16_e32 v93, 0xb8b4, v56
	v_add_f16_e32 v65, v15, v69
	v_fmac_f16_e32 v95, 0x34f2, v59
	ds_write2_b32 v89, v66, v58 offset0:2 offset1:3
	v_mul_f16_e32 v58, 0xbb9c, v92
	v_fmac_f16_e32 v93, 0x34f2, v59
	v_mul_f16_e32 v59, 0xbb9c, v94
	v_fmac_f16_e32 v86, 0x34f2, v79
	v_add_f16_e32 v56, v18, v65
	v_fmac_f16_e32 v58, 0x34f2, v88
	v_mul_f16_e32 v66, 0xb8b4, v93
	v_fmac_f16_e32 v59, 0xb4f2, v11
	v_fmac_f16_e32 v87, 0x34f2, v79
	v_mul_f16_e32 v57, 0xb8b4, v95
	v_add_f16_e32 v65, v70, v56
	v_sub_f16_e32 v56, v56, v70
	v_fmac_f16_e32 v66, 0xba79, v86
	v_add_f16_e32 v69, v90, v58
	v_sub_f16_e32 v70, v90, v58
	v_add_f16_e32 v58, v45, v59
	v_fmac_f16_e32 v57, 0x3a79, v87
	v_add_f16_e32 v71, v67, v66
	v_sub_f16_e32 v66, v67, v66
	v_pack_b32_f16 v67, v64, v0
	v_sub_f16_e32 v0, v32, v30
	v_pack_b32_f16 v69, v69, v58
	v_sub_f16_e32 v58, v33, v31
	v_add_f16_e32 v64, v61, v62
	v_add_f16_e32 v68, v78, v57
	v_sub_f16_e32 v45, v45, v59
	v_mul_i32_i24_e32 v59, 10, v8
	v_add_f16_e32 v72, v58, v0
	v_fma_f16 v96, -0.5, v64, v16
	v_sub_f16_e32 v73, v28, v24
	v_add_f16_e32 v58, v31, v30
	v_pack_b32_f16 v65, v65, v68
	v_lshl_add_u32 v90, v59, 1, 0
	v_sub_f16_e32 v59, v63, v62
	v_sub_f16_e32 v68, v60, v61
	v_add_f16_e32 v0, v60, v63
	v_fmamk_f16 v99, v73, 0xbb9c, v96
	v_sub_f16_e32 v75, v26, v25
	v_fmac_f16_e32 v96, 0x3b9c, v73
	v_fma_f16 v64, -0.5, v58, v53
	v_sub_f16_e32 v58, v20, v23
	v_add_f16_e32 v68, v68, v59
	v_add_f16_e32 v74, v63, v16
	v_fmac_f16_e32 v16, -0.5, v0
	v_fmac_f16_e32 v99, 0xb8b4, v75
	v_fmac_f16_e32 v96, 0x38b4, v75
	v_fmamk_f16 v0, v58, 0xbb9c, v64
	v_sub_f16_e32 v59, v21, v22
	v_fmac_f16_e32 v64, 0x3b9c, v58
	v_fmamk_f16 v91, v75, 0x3b9c, v16
	v_fmac_f16_e32 v16, 0xbb9c, v75
	v_fmac_f16_e32 v99, 0x34f2, v68
	;; [unrolled: 1-line block ×5, first 2 shown]
	v_add_f16_e32 v68, v25, v26
	v_sub_f16_e32 v57, v78, v57
	v_sub_f16_e32 v76, v62, v63
	v_fmac_f16_e32 v91, 0xb8b4, v73
	v_fmac_f16_e32 v16, 0x38b4, v73
	;; [unrolled: 1-line block ×4, first 2 shown]
	v_add_f16_e32 v72, v62, v74
	v_sub_f16_e32 v63, v63, v60
	v_fma_f16 v101, -0.5, v68, v27
	v_sub_f16_e32 v68, v28, v26
	v_sub_f16_e32 v73, v24, v25
	;; [unrolled: 1-line block ×3, first 2 shown]
	v_pack_b32_f16 v70, v57, v70
	v_sub_f16_e32 v57, v62, v61
	v_fmamk_f16 v100, v63, 0x3b9c, v101
	v_add_f16_e32 v61, v61, v72
	v_add_f16_e32 v62, v73, v68
	v_fmac_f16_e32 v101, 0xbb9c, v63
	v_add_f16_e32 v68, v24, v28
	v_fmac_f16_e32 v100, 0x38b4, v57
	v_add_f16_e32 v60, v60, v61
	v_add_f16_e32 v61, v32, v53
	v_fmac_f16_e32 v101, 0xb8b4, v57
	v_fma_f16 v97, -0.5, v68, v27
	v_fmac_f16_e32 v100, 0x34f2, v62
	v_pack_b32_f16 v71, v71, v56
	v_sub_f16_e32 v56, v26, v28
	v_fmac_f16_e32 v101, 0x34f2, v62
	v_fmamk_f16 v98, v57, 0xbb9c, v97
	v_fmac_f16_e32 v97, 0x3b9c, v57
	v_add_f16_e32 v57, v30, v61
	v_sub_f16_e32 v68, v25, v24
	v_mul_f16_e32 v62, 0xb8b4, v100
	v_fmac_f16_e32 v98, 0x38b4, v63
	v_fmac_f16_e32 v97, 0xb8b4, v63
	v_mul_f16_e32 v63, 0xb8b4, v101
	v_add_f16_e32 v57, v31, v57
	v_add_f16_e32 v75, v77, v76
	;; [unrolled: 1-line block ×3, first 2 shown]
	v_fmac_f16_e32 v62, 0x3a79, v99
	v_fmac_f16_e32 v63, 0xba79, v96
	v_add_f16_e32 v61, v33, v57
	v_fmac_f16_e32 v91, 0x34f2, v75
	v_fmac_f16_e32 v16, 0x34f2, v75
	v_pack_b32_f16 v66, v45, v66
	v_fmac_f16_e32 v98, 0x34f2, v56
	v_fmac_f16_e32 v97, 0x34f2, v56
	v_cmp_gt_u32_e64 s1, 45, v7
	v_add_f16_e32 v45, v64, v63
	v_sub_f16_e32 v57, v61, v60
	v_sub_f16_e32 v56, v0, v62
	ds_write_b32 v89, v67 offset:16
	ds_write2_b32 v90, v65, v69 offset1:1
	ds_write2_b32 v90, v71, v70 offset0:2 offset1:3
	ds_write_b32 v90, v66 offset:16
	s_and_saveexec_b32 s0, s1
	s_cbranch_execz .LBB0_17
; %bb.16:
	v_add_f16_e32 v65, v33, v32
	v_sub_f16_e32 v63, v64, v63
	v_sub_f16_e32 v64, v30, v32
	v_mul_f16_e32 v67, 0xbb9c, v98
	v_add_f16_e32 v0, v0, v62
	v_fmac_f16_e32 v53, -0.5, v65
	v_sub_f16_e32 v65, v31, v33
	v_fmac_f16_e32 v67, 0x34f2, v91
	v_fmamk_f16 v66, v59, 0xbb9c, v53
	v_fmac_f16_e32 v53, 0x3b9c, v59
	v_mul_f16_e32 v59, 0xbb9c, v97
	v_add_f16_e32 v64, v65, v64
	v_perm_b32 v65, v57, v45, 0x5040100
	v_fmac_f16_e32 v66, 0x38b4, v58
	v_fmac_f16_e32 v53, 0xb8b4, v58
	;; [unrolled: 1-line block ×3, first 2 shown]
	v_add_f16_e32 v58, v60, v61
	v_add_nc_u32_e32 v60, 0xe10, v89
	v_fmac_f16_e32 v66, 0x34f2, v64
	v_fmac_f16_e32 v53, 0x34f2, v64
	v_add_nc_u32_e32 v61, 0xe18, v89
	v_pack_b32_f16 v0, v58, v0
	v_add_f16_e32 v62, v66, v59
	v_add_f16_e32 v64, v53, v67
	v_sub_f16_e32 v53, v53, v67
	v_sub_f16_e32 v59, v66, v59
	v_pack_b32_f16 v58, v64, v62
	v_perm_b32 v53, v53, v56, 0x5040100
	v_pack_b32_f16 v59, v59, v63
	ds_write2_b32 v60, v0, v58 offset1:1
	ds_write2_b32 v61, v65, v53 offset1:1
	ds_write_b32 v89, v59 offset:3616
.LBB0_17:
	s_or_b32 exec_lo, exec_lo, s0
	v_mad_i32_i24 v0, 0xffffffee, v7, v89
	v_mad_i32_i24 v64, 0xffffffee, v8, v90
	s_waitcnt lgkmcnt(0)
	s_barrier
	buffer_gl0_inv
	ds_read_u16 v62, v0
	ds_read_u16 v53, v0 offset:360
	ds_read_u16 v58, v0 offset:540
	;; [unrolled: 1-line block ×21, first 2 shown]
	ds_read_u16 v64, v64
	ds_read_u16 v70, v0 offset:4260
	v_cmp_gt_u32_e64 s0, 30, v7
	s_and_saveexec_b32 s6, s0
	s_cbranch_execz .LBB0_19
; %bb.18:
	ds_read_u16 v45, v0 offset:1440
	ds_read_u16 v57, v0 offset:2940
	;; [unrolled: 1-line block ×3, first 2 shown]
.LBB0_19:
	s_or_b32 exec_lo, exec_lo, s6
	v_add_f16_e32 v102, v52, v44
	v_add_f16_e32 v103, v50, v51
	v_sub_f16_e32 v12, v12, v10
	v_add_f16_e32 v104, v49, v52
	v_sub_f16_e32 v13, v13, v29
	v_add_f16_e32 v10, v51, v102
	v_fma_f16 v29, -0.5, v103, v44
	v_sub_f16_e32 v102, v52, v51
	v_sub_f16_e32 v103, v49, v50
	v_fmac_f16_e32 v44, -0.5, v104
	v_add_f16_e32 v105, v50, v10
	v_fmamk_f16 v106, v13, 0x3b9c, v29
	v_fmac_f16_e32 v29, 0xbb9c, v13
	v_add_f16_e32 v102, v103, v102
	v_add_f16_e32 v54, v54, v55
	v_add_f16_e32 v103, v49, v105
	v_fmamk_f16 v55, v12, 0xbb9c, v44
	v_sub_f16_e32 v51, v51, v52
	v_sub_f16_e32 v49, v50, v49
	v_fmac_f16_e32 v44, 0x3b9c, v12
	v_fmac_f16_e32 v106, 0x38b4, v12
	;; [unrolled: 1-line block ×3, first 2 shown]
	v_add_f16_e32 v48, v48, v54
	v_fmac_f16_e32 v55, 0x38b4, v13
	v_add_f16_e32 v12, v49, v51
	v_fmac_f16_e32 v44, 0xb8b4, v13
	v_fmac_f16_e32 v29, 0x34f2, v102
	v_add_f16_e32 v47, v47, v48
	v_mul_f16_e32 v48, 0x3a79, v81
	v_fmac_f16_e32 v55, 0x34f2, v12
	v_fmac_f16_e32 v44, 0x34f2, v12
	v_mul_f16_e32 v12, 0x34f2, v84
	v_mul_f16_e32 v6, 0x38b4, v6
	v_fma_f16 v5, v5, 0x38b4, -v48
	v_add_f16_e32 v13, v46, v47
	v_add_f16_e32 v51, v41, v34
	v_fma_f16 v9, v9, 0x3b9c, -v12
	v_add_f16_e32 v12, v39, v40
	v_add_f16_e32 v54, v29, v5
	v_sub_f16_e32 v29, v29, v5
	v_add_f16_e32 v5, v42, v43
	v_sub_f16_e32 v15, v17, v15
	v_fma_f16 v52, -0.5, v12, v34
	v_sub_f16_e32 v12, v19, v18
	v_add_f16_e32 v19, v38, v41
	v_sub_f16_e32 v17, v41, v40
	v_sub_f16_e32 v18, v38, v39
	v_add_f16_e32 v5, v37, v5
	v_fmac_f16_e32 v106, 0x34f2, v102
	v_fmac_f16_e32 v34, -0.5, v19
	v_fmac_f16_e32 v6, 0x3a79, v83
	v_add_f16_e32 v47, v13, v103
	v_add_f16_e32 v48, v44, v9
	v_sub_f16_e32 v81, v103, v13
	v_fmamk_f16 v13, v12, 0x3b9c, v52
	v_add_f16_e32 v17, v18, v17
	v_sub_f16_e32 v44, v44, v9
	v_fmac_f16_e32 v52, 0xbb9c, v12
	v_fmamk_f16 v18, v15, 0xbb9c, v34
	v_sub_f16_e32 v9, v40, v41
	v_sub_f16_e32 v19, v39, v38
	v_fmac_f16_e32 v34, 0x3b9c, v15
	v_add_f16_e32 v5, v36, v5
	v_mul_f16_e32 v46, 0x3b9c, v82
	v_add_f16_e32 v49, v106, v6
	v_sub_f16_e32 v82, v106, v6
	v_add_f16_e32 v6, v40, v51
	v_fmac_f16_e32 v13, 0x38b4, v15
	v_fmac_f16_e32 v52, 0xb8b4, v15
	;; [unrolled: 1-line block ×3, first 2 shown]
	v_add_f16_e32 v9, v19, v9
	v_fmac_f16_e32 v34, 0xb8b4, v12
	v_add_f16_e32 v15, v35, v5
	v_mul_f16_e32 v5, 0x34f2, v94
	v_add_f16_e32 v6, v39, v6
	v_mul_f16_e32 v12, 0x38b4, v87
	v_fmac_f16_e32 v18, 0x34f2, v9
	v_fmac_f16_e32 v34, 0x34f2, v9
	v_mul_f16_e32 v9, 0x3a79, v93
	v_fma_f16 v19, v11, 0x3b9c, -v5
	v_add_f16_e32 v5, v20, v14
	v_add_f16_e32 v6, v38, v6
	v_fmac_f16_e32 v13, 0x34f2, v17
	v_fmac_f16_e32 v52, 0x34f2, v17
	;; [unrolled: 1-line block ×3, first 2 shown]
	v_mul_f16_e32 v17, 0x3b9c, v88
	v_fma_f16 v37, v86, 0x38b4, -v9
	v_add_f16_e32 v9, v22, v21
	v_add_f16_e32 v11, v21, v5
	;; [unrolled: 1-line block ×4, first 2 shown]
	v_fmac_f16_e32 v17, 0x34f2, v92
	v_fma_f16 v5, -0.5, v9, v14
	v_sub_f16_e32 v9, v32, v33
	v_sub_f16_e32 v32, v6, v15
	;; [unrolled: 1-line block ×3, first 2 shown]
	v_add_f16_e32 v6, v22, v11
	v_add_f16_e32 v13, v28, v27
	v_fmac_f16_e32 v46, 0x34f2, v85
	v_add_f16_e32 v38, v18, v17
	v_sub_f16_e32 v41, v18, v17
	v_fmamk_f16 v11, v9, 0x3b9c, v5
	v_sub_f16_e32 v12, v30, v31
	v_sub_f16_e32 v15, v20, v21
	;; [unrolled: 1-line block ×3, first 2 shown]
	v_fmac_f16_e32 v5, 0xbb9c, v9
	v_add_f16_e32 v18, v23, v6
	v_add_f16_e32 v6, v26, v13
	v_add_f16_e32 v50, v55, v46
	v_fmac_f16_e32 v11, 0x38b4, v12
	v_add_f16_e32 v13, v17, v15
	v_fmac_f16_e32 v5, 0xb8b4, v12
	v_mul_f16_e32 v15, 0x3a79, v101
	v_add_f16_e32 v6, v25, v6
	v_mul_f16_e32 v25, 0x38b4, v99
	v_sub_f16_e32 v46, v55, v46
	v_fmac_f16_e32 v11, 0x34f2, v13
	v_fmac_f16_e32 v5, 0x34f2, v13
	v_fma_f16 v13, v96, 0x38b4, -v15
	v_add_f16_e32 v24, v24, v6
	v_fmac_f16_e32 v25, 0x3a79, v100
	v_pack_b32_f16 v28, v50, v48
	v_pack_b32_f16 v30, v47, v49
	v_add_f16_e32 v39, v34, v19
	v_add_f16_e32 v40, v52, v37
	v_sub_f16_e32 v26, v34, v19
	v_sub_f16_e32 v27, v52, v37
	v_mul_i32_i24_e32 v10, 0xffffffee, v8
	v_add_f16_e32 v19, v5, v13
	v_sub_f16_e32 v17, v18, v24
	v_sub_f16_e32 v15, v11, v25
	v_add_nc_u32_e32 v6, 0xb4, v7
	s_waitcnt lgkmcnt(0)
	s_barrier
	buffer_gl0_inv
	ds_write2_b32 v89, v30, v28 offset1:1
	v_pack_b32_f16 v28, v82, v46
	v_pack_b32_f16 v30, v54, v81
	v_pack_b32_f16 v29, v44, v29
	v_pack_b32_f16 v31, v38, v39
	v_pack_b32_f16 v34, v35, v36
	v_pack_b32_f16 v33, v33, v41
	v_pack_b32_f16 v32, v40, v32
	v_pack_b32_f16 v26, v26, v27
	ds_write2_b32 v89, v30, v28 offset0:2 offset1:3
	ds_write_b32 v89, v29 offset:16
	ds_write2_b32 v90, v34, v31 offset1:1
	ds_write2_b32 v90, v32, v33 offset0:2 offset1:3
	ds_write_b32 v90, v26 offset:16
	s_and_saveexec_b32 s6, s1
	s_cbranch_execz .LBB0_21
; %bb.20:
	v_add_f16_e32 v26, v23, v20
	v_sub_f16_e32 v20, v21, v20
	v_sub_f16_e32 v21, v22, v23
	v_mul_f16_e32 v23, 0x34f2, v97
	v_add_f16_e32 v18, v24, v18
	v_fmac_f16_e32 v14, -0.5, v26
	v_sub_f16_e32 v5, v5, v13
	v_add_f16_e32 v20, v21, v20
	v_mul_u32_u24_e32 v13, 10, v6
	v_fmamk_f16 v22, v12, 0xbb9c, v14
	v_fmac_f16_e32 v14, 0x3b9c, v12
	v_mul_f16_e32 v12, 0x3b9c, v91
	v_lshl_add_u32 v13, v13, 1, 0
	v_fmac_f16_e32 v22, 0x38b4, v9
	v_fmac_f16_e32 v14, 0xb8b4, v9
	v_add_f16_e32 v9, v11, v25
	v_fmac_f16_e32 v12, 0x34f2, v98
	v_fma_f16 v11, v16, 0x3b9c, -v23
	v_fmac_f16_e32 v22, 0x34f2, v20
	v_fmac_f16_e32 v14, 0x34f2, v20
	v_pack_b32_f16 v9, v18, v9
	v_perm_b32 v16, v17, v19, 0x5040100
	v_add_f16_e32 v20, v22, v12
	v_add_f16_e32 v21, v14, v11
	v_sub_f16_e32 v12, v22, v12
	v_sub_f16_e32 v11, v14, v11
	v_pack_b32_f16 v14, v20, v21
	v_perm_b32 v12, v12, v15, 0x5040100
	v_pack_b32_f16 v5, v11, v5
	ds_write2_b32 v13, v9, v14 offset1:1
	ds_write2_b32 v13, v16, v12 offset0:2 offset1:3
	ds_write_b32 v13, v5 offset:16
.LBB0_21:
	s_or_b32 exec_lo, exec_lo, s6
	s_waitcnt lgkmcnt(0)
	s_barrier
	buffer_gl0_inv
	v_add_nc_u32_e32 v5, v90, v10
	ds_read_u16 v27, v0
	ds_read_u16 v22, v0 offset:360
	ds_read_u16 v23, v0 offset:540
	;; [unrolled: 1-line block ×21, first 2 shown]
	ds_read_u16 v29, v5
	ds_read_u16 v34, v0 offset:4260
	s_and_saveexec_b32 s1, s0
	s_cbranch_execz .LBB0_23
; %bb.22:
	ds_read_u16 v19, v0 offset:1440
	ds_read_u16 v17, v0 offset:2940
	;; [unrolled: 1-line block ×3, first 2 shown]
.LBB0_23:
	s_or_b32 exec_lo, exec_lo, s1
	v_and_b32_e32 v21, 0xff, v7
	v_and_b32_e32 v20, 0xff, v8
	v_mov_b32_e32 v30, 0xcccd
	v_add_nc_u32_e32 v9, 0x10e, v7
	v_add_nc_u32_e32 v10, 0x168, v7
	v_mul_lo_u16 v12, 0xcd, v21
	v_mul_lo_u16 v14, 0xcd, v20
	v_mul_u32_u24_sdwa v46, v6, v30 dst_sel:DWORD dst_unused:UNUSED_PAD src0_sel:WORD_0 src1_sel:DWORD
	v_add_nc_u32_e32 v13, 0x1c2, v7
	v_add_nc_u32_e32 v11, 0x21c, v7
	v_lshrrev_b16 v47, 11, v12
	v_lshrrev_b16 v49, 11, v14
	v_mul_u32_u24_sdwa v14, v9, v30 dst_sel:DWORD dst_unused:UNUSED_PAD src0_sel:WORD_0 src1_sel:DWORD
	v_lshrrev_b32_e32 v50, 19, v46
	v_mov_b32_e32 v48, 3
	v_mul_lo_u16 v46, v47, 10
	v_mul_u32_u24_sdwa v51, v10, v30 dst_sel:DWORD dst_unused:UNUSED_PAD src0_sel:WORD_0 src1_sel:DWORD
	v_lshrrev_b32_e32 v55, 19, v14
	v_mul_lo_u16 v52, v49, 10
	v_mul_lo_u16 v54, v50, 10
	v_sub_nc_u16 v81, v7, v46
	v_mul_u32_u24_sdwa v14, v13, v30 dst_sel:DWORD dst_unused:UNUSED_PAD src0_sel:WORD_0 src1_sel:DWORD
	v_mul_lo_u16 v46, v55, 10
	v_sub_nc_u16 v52, v8, v52
	v_lshrrev_b32_e32 v51, 19, v51
	v_lshlrev_b32_sdwa v82, v48, v81 dst_sel:DWORD dst_unused:UNUSED_PAD src0_sel:DWORD src1_sel:BYTE_0
	v_mul_u32_u24_sdwa v86, v11, v30 dst_sel:DWORD dst_unused:UNUSED_PAD src0_sel:WORD_0 src1_sel:DWORD
	v_sub_nc_u16 v54, v6, v54
	v_sub_nc_u16 v85, v9, v46
	v_add_nc_u32_e32 v12, 0x276, v7
	v_lshlrev_b32_sdwa v83, v48, v52 dst_sel:DWORD dst_unused:UNUSED_PAD src0_sel:DWORD src1_sel:BYTE_0
	v_lshrrev_b32_e32 v84, 19, v14
	v_mul_lo_u16 v14, v51, 10
	global_load_dwordx2 v[100:101], v82, s[12:13]
	v_lshrrev_b32_e32 v82, 19, v86
	v_lshlrev_b32_sdwa v46, v48, v54 dst_sel:DWORD dst_unused:UNUSED_PAD src0_sel:DWORD src1_sel:WORD_0
	v_lshlrev_b32_sdwa v88, v48, v85 dst_sel:DWORD dst_unused:UNUSED_PAD src0_sel:DWORD src1_sel:WORD_0
	v_mul_lo_u16 v87, v84, 10
	v_sub_nc_u16 v89, v10, v14
	v_add_nc_u32_e32 v14, 0x2d0, v7
	v_mul_u32_u24_sdwa v86, v12, v30 dst_sel:DWORD dst_unused:UNUSED_PAD src0_sel:WORD_0 src1_sel:DWORD
	s_clause 0x2
	global_load_dwordx2 v[102:103], v83, s[12:13]
	global_load_dwordx2 v[104:105], v46, s[12:13]
	;; [unrolled: 1-line block ×3, first 2 shown]
	v_mul_lo_u16 v46, v82, 10
	v_mul_u32_u24_e32 v55, 60, v55
	v_mul_u32_u24_sdwa v30, v14, v30 dst_sel:DWORD dst_unused:UNUSED_PAD src0_sel:WORD_0 src1_sel:DWORD
	v_lshrrev_b32_e32 v83, 19, v86
	v_sub_nc_u16 v86, v13, v87
	v_sub_nc_u16 v90, v11, v46
	v_lshlrev_b32_sdwa v87, v48, v89 dst_sel:DWORD dst_unused:UNUSED_PAD src0_sel:DWORD src1_sel:WORD_0
	v_lshrrev_b32_e32 v88, 19, v30
	v_mul_lo_u16 v30, v83, 10
	v_lshlrev_b32_sdwa v46, v48, v86 dst_sel:DWORD dst_unused:UNUSED_PAD src0_sel:DWORD src1_sel:WORD_0
	v_lshlrev_b32_sdwa v92, v48, v90 dst_sel:DWORD dst_unused:UNUSED_PAD src0_sel:DWORD src1_sel:WORD_0
	global_load_dwordx2 v[108:109], v87, s[12:13]
	v_mul_u32_u24_e32 v51, 60, v51
	v_sub_nc_u16 v91, v12, v30
	v_mul_u32_u24_e32 v93, 60, v83
	s_clause 0x1
	global_load_dwordx2 v[112:113], v92, s[12:13]
	global_load_dwordx2 v[110:111], v46, s[12:13]
	v_mul_lo_u16 v87, v88, 10
	v_lshlrev_b32_sdwa v46, v48, v91 dst_sel:DWORD dst_unused:UNUSED_PAD src0_sel:DWORD src1_sel:WORD_0
	v_mul_u32_u24_e32 v92, 60, v82
	v_sub_nc_u16 v30, v14, v87
	v_mul_u32_u24_e32 v87, 60, v84
	v_lshlrev_b32_sdwa v48, v48, v30 dst_sel:DWORD dst_unused:UNUSED_PAD src0_sel:DWORD src1_sel:WORD_0
	s_clause 0x1
	global_load_dwordx2 v[114:115], v46, s[12:13]
	global_load_dwordx2 v[116:117], v48, s[12:13]
	v_mov_b32_e32 v48, 60
	v_mov_b32_e32 v46, 1
	s_waitcnt vmcnt(0) lgkmcnt(0)
	s_barrier
	buffer_gl0_inv
	v_mul_u32_u24_sdwa v47, v47, v48 dst_sel:DWORD dst_unused:UNUSED_PAD src0_sel:WORD_0 src1_sel:DWORD
	v_mul_u32_u24_sdwa v48, v49, v48 dst_sel:DWORD dst_unused:UNUSED_PAD src0_sel:WORD_0 src1_sel:DWORD
	v_mul_u32_u24_e32 v49, 60, v50
	v_lshlrev_b32_sdwa v54, v46, v54 dst_sel:DWORD dst_unused:UNUSED_PAD src0_sel:DWORD src1_sel:WORD_0
	v_lshlrev_b32_sdwa v82, v46, v85 dst_sel:DWORD dst_unused:UNUSED_PAD src0_sel:DWORD src1_sel:WORD_0
	;; [unrolled: 1-line block ×3, first 2 shown]
	v_mul_lo_u16 v50, v88, 30
	v_lshlrev_b32_sdwa v81, v46, v81 dst_sel:DWORD dst_unused:UNUSED_PAD src0_sel:DWORD src1_sel:BYTE_0
	v_lshlrev_b32_sdwa v52, v46, v52 dst_sel:DWORD dst_unused:UNUSED_PAD src0_sel:DWORD src1_sel:BYTE_0
	v_lshlrev_b32_sdwa v88, v46, v89 dst_sel:DWORD dst_unused:UNUSED_PAD src0_sel:DWORD src1_sel:WORD_0
	v_lshlrev_b32_sdwa v89, v46, v90 dst_sel:DWORD dst_unused:UNUSED_PAD src0_sel:DWORD src1_sel:WORD_0
	;; [unrolled: 1-line block ×3, first 2 shown]
	v_add3_u32 v83, 0, v49, v54
	v_add3_u32 v82, 0, v55, v82
	;; [unrolled: 1-line block ×8, first 2 shown]
	v_mul_f16_sdwa v98, v43, v100 dst_sel:DWORD dst_unused:UNUSED_PAD src0_sel:DWORD src1_sel:WORD_1
	v_mul_f16_sdwa v99, v44, v101 dst_sel:DWORD dst_unused:UNUSED_PAD src0_sel:DWORD src1_sel:WORD_1
	;; [unrolled: 1-line block ×4, first 2 shown]
	v_fmac_f16_e32 v98, v79, v100
	v_mul_f16_sdwa v96, v40, v102 dst_sel:DWORD dst_unused:UNUSED_PAD src0_sel:DWORD src1_sel:WORD_1
	v_mul_f16_sdwa v97, v42, v103 dst_sel:DWORD dst_unused:UNUSED_PAD src0_sel:DWORD src1_sel:WORD_1
	;; [unrolled: 1-line block ×8, first 2 shown]
	v_fmac_f16_e32 v99, v80, v101
	v_mul_f16_sdwa v120, v76, v102 dst_sel:DWORD dst_unused:UNUSED_PAD src0_sel:DWORD src1_sel:WORD_1
	v_mul_f16_sdwa v122, v74, v104 dst_sel:DWORD dst_unused:UNUSED_PAD src0_sel:DWORD src1_sel:WORD_1
	v_fmac_f16_e32 v96, v76, v102
	v_fmac_f16_e32 v97, v78, v103
	v_mul_f16_sdwa v123, v77, v105 dst_sel:DWORD dst_unused:UNUSED_PAD src0_sel:DWORD src1_sel:WORD_1
	v_mul_f16_sdwa v49, v32, v108 dst_sel:DWORD dst_unused:UNUSED_PAD src0_sel:DWORD src1_sel:WORD_1
	;; [unrolled: 1-line block ×14, first 2 shown]
	v_fma_f16 v76, v42, v103, -v121
	v_fmac_f16_e32 v93, v74, v104
	v_fmac_f16_e32 v95, v77, v105
	v_fmac_f16_e32 v91, v72, v106
	v_fma_f16 v42, v36, v106, -v124
	v_fmac_f16_e32 v94, v75, v107
	v_mul_f16_sdwa v47, v33, v114 dst_sel:DWORD dst_unused:UNUSED_PAD src0_sel:DWORD src1_sel:WORD_1
	v_mul_f16_sdwa v55, v17, v116 dst_sel:DWORD dst_unused:UNUSED_PAD src0_sel:DWORD src1_sel:WORD_1
	v_mul_f16_sdwa v87, v15, v117 dst_sel:DWORD dst_unused:UNUSED_PAD src0_sel:DWORD src1_sel:WORD_1
	v_mul_f16_sdwa v48, v34, v115 dst_sel:DWORD dst_unused:UNUSED_PAD src0_sel:DWORD src1_sel:WORD_1
	v_mul_f16_sdwa v134, v57, v116 dst_sel:DWORD dst_unused:UNUSED_PAD src0_sel:DWORD src1_sel:WORD_1
	v_mul_f16_sdwa v135, v56, v117 dst_sel:DWORD dst_unused:UNUSED_PAD src0_sel:DWORD src1_sel:WORD_1
	v_fmac_f16_e32 v55, v57, v116
	v_fmac_f16_e32 v87, v56, v117
	v_mul_f16_sdwa v133, v70, v115 dst_sel:DWORD dst_unused:UNUSED_PAD src0_sel:DWORD src1_sel:WORD_1
	v_mul_f16_sdwa v132, v69, v114 dst_sel:DWORD dst_unused:UNUSED_PAD src0_sel:DWORD src1_sel:WORD_1
	v_fmac_f16_e32 v49, v68, v108
	v_fmac_f16_e32 v89, v73, v109
	;; [unrolled: 1-line block ×8, first 2 shown]
	v_fma_f16 v66, v17, v116, -v134
	v_fma_f16 v65, v15, v117, -v135
	v_add_f16_e32 v15, v62, v98
	v_add_f16_e32 v106, v55, v87
	v_fma_f16 v100, v43, v100, -v118
	v_fma_f16 v44, v44, v101, -v119
	;; [unrolled: 1-line block ×3, first 2 shown]
	v_add_f16_e32 v16, v98, v99
	v_fma_f16 v79, v40, v102, -v120
	v_fma_f16 v43, v38, v104, -v122
	;; [unrolled: 1-line block ×4, first 2 shown]
	v_add_f16_e32 v34, v96, v97
	v_fma_f16 v41, v41, v105, -v123
	v_fma_f16 v40, v39, v107, -v125
	;; [unrolled: 1-line block ×7, first 2 shown]
	v_add_f16_e32 v67, v93, v95
	v_add_f16_e32 v70, v91, v94
	;; [unrolled: 1-line block ×6, first 2 shown]
	v_sub_f16_e32 v107, v66, v65
	v_add_f16_e32 v108, v15, v99
	v_fma_f16 v15, -0.5, v106, v45
	v_sub_f16_e32 v17, v100, v44
	v_fmac_f16_e32 v62, -0.5, v16
	v_add_f16_e32 v33, v64, v96
	v_sub_f16_e32 v56, v79, v76
	v_fmac_f16_e32 v64, -0.5, v34
	v_add_f16_e32 v57, v53, v93
	v_sub_f16_e32 v68, v43, v41
	v_add_f16_e32 v69, v58, v91
	v_sub_f16_e32 v71, v42, v40
	;; [unrolled: 2-line block ×6, first 2 shown]
	v_fmac_f16_e32 v53, -0.5, v67
	v_fmac_f16_e32 v58, -0.5, v70
	;; [unrolled: 1-line block ×6, first 2 shown]
	v_fmamk_f16 v16, v107, 0xbaee, v15
	v_fmac_f16_e32 v15, 0x3aee, v107
	v_fmamk_f16 v73, v17, 0xbaee, v62
	v_fmac_f16_e32 v62, 0x3aee, v17
	v_add_f16_e32 v33, v33, v97
	v_fmamk_f16 v17, v56, 0xbaee, v64
	v_add_f16_e32 v34, v57, v95
	v_add_f16_e32 v57, v69, v94
	;; [unrolled: 1-line block ×6, first 2 shown]
	v_fmac_f16_e32 v64, 0x3aee, v56
	v_fmamk_f16 v56, v68, 0xbaee, v53
	v_fmac_f16_e32 v53, 0x3aee, v68
	v_fmamk_f16 v68, v71, 0xbaee, v58
	;; [unrolled: 2-line block ×6, first 2 shown]
	v_fmac_f16_e32 v63, 0x3aee, v105
	ds_write_b16 v85, v108
	ds_write_b16 v85, v73 offset:20
	ds_write_b16 v85, v62 offset:40
	ds_write_b16 v84, v33
	ds_write_b16 v84, v17 offset:20
	ds_write_b16 v84, v64 offset:40
	;; [unrolled: 3-line block ×8, first 2 shown]
	s_and_saveexec_b32 s1, s0
	s_cbranch_execz .LBB0_25
; %bb.24:
	v_add_f16_e32 v17, v45, v55
	v_lshlrev_b32_sdwa v33, v46, v30 dst_sel:DWORD dst_unused:UNUSED_PAD src0_sel:DWORD src1_sel:WORD_0
	v_lshlrev_b32_sdwa v34, v46, v50 dst_sel:DWORD dst_unused:UNUSED_PAD src0_sel:DWORD src1_sel:WORD_0
	v_add_f16_e32 v17, v17, v87
	v_add3_u32 v33, 0, v33, v34
	ds_write_b16 v33, v17
	ds_write_b16 v33, v16 offset:20
	ds_write_b16 v33, v15 offset:40
.LBB0_25:
	s_or_b32 exec_lo, exec_lo, s1
	v_add_f16_e32 v17, v100, v44
	v_add_f16_e32 v33, v27, v100
	v_sub_f16_e32 v34, v98, v99
	v_add_f16_e32 v45, v79, v76
	v_sub_f16_e32 v46, v96, v97
	v_fmac_f16_e32 v27, -0.5, v17
	v_add_f16_e32 v17, v29, v79
	v_add_f16_e32 v53, v33, v44
	;; [unrolled: 1-line block ×3, first 2 shown]
	v_fmac_f16_e32 v29, -0.5, v45
	v_fmamk_f16 v61, v34, 0x3aee, v27
	v_add_f16_e32 v62, v17, v76
	v_add_f16_e32 v17, v43, v41
	v_fmac_f16_e32 v27, 0xbaee, v34
	v_add_f16_e32 v34, v42, v40
	v_add_f16_e32 v64, v33, v41
	;; [unrolled: 1-line block ×3, first 2 shown]
	v_fmac_f16_e32 v22, -0.5, v17
	v_sub_f16_e32 v17, v93, v95
	v_fmac_f16_e32 v23, -0.5, v34
	v_sub_f16_e32 v34, v91, v94
	v_add_f16_e32 v68, v33, v40
	v_add_f16_e32 v33, v24, v39
	v_fmamk_f16 v67, v17, 0x3aee, v22
	v_fmac_f16_e32 v22, 0xbaee, v17
	v_add_f16_e32 v17, v39, v37
	v_fmamk_f16 v69, v34, 0x3aee, v23
	v_fmac_f16_e32 v23, 0xbaee, v34
	v_add_f16_e32 v34, v38, v35
	v_add_f16_e32 v70, v33, v37
	v_fmac_f16_e32 v24, -0.5, v17
	v_sub_f16_e32 v17, v49, v89
	v_add_f16_e32 v33, v25, v38
	v_fmac_f16_e32 v25, -0.5, v34
	v_sub_f16_e32 v34, v88, v92
	v_add_f16_e32 v37, v36, v32
	v_fmamk_f16 v71, v17, 0x3aee, v24
	v_fmac_f16_e32 v24, 0xbaee, v17
	v_add_f16_e32 v17, v26, v36
	v_fmamk_f16 v73, v34, 0x3aee, v25
	v_fmac_f16_e32 v25, 0xbaee, v34
	v_add_f16_e32 v34, v31, v18
	v_add_f16_e32 v72, v33, v35
	;; [unrolled: 1-line block ×4, first 2 shown]
	v_fmac_f16_e32 v26, -0.5, v37
	v_sub_f16_e32 v33, v86, v90
	v_add_f16_e32 v31, v28, v31
	v_fmac_f16_e32 v28, -0.5, v34
	v_sub_f16_e32 v32, v47, v48
	v_fma_f16 v17, -0.5, v17, v19
	v_sub_f16_e32 v34, v55, v87
	v_fmamk_f16 v63, v46, 0x3aee, v29
	v_fmac_f16_e32 v29, 0xbaee, v46
	v_fmamk_f16 v75, v33, 0x3aee, v26
	v_fmac_f16_e32 v26, 0xbaee, v33
	v_add_f16_e32 v76, v31, v18
	v_fmamk_f16 v77, v32, 0x3aee, v28
	v_fmac_f16_e32 v28, 0xbaee, v32
	v_fmamk_f16 v18, v34, 0x3aee, v17
	v_fmac_f16_e32 v17, 0xbaee, v34
	s_waitcnt lgkmcnt(0)
	s_barrier
	buffer_gl0_inv
	ds_read_u16 v31, v5
	ds_read_u16 v48, v0 offset:2880
	ds_read_u16 v35, v0
	ds_read_u16 v32, v0 offset:360
	ds_read_u16 v33, v0 offset:540
	;; [unrolled: 1-line block ×22, first 2 shown]
	s_waitcnt lgkmcnt(0)
	s_barrier
	buffer_gl0_inv
	ds_write_b16 v85, v53
	ds_write_b16 v85, v61 offset:20
	ds_write_b16 v85, v27 offset:40
	ds_write_b16 v84, v62
	ds_write_b16 v84, v63 offset:20
	ds_write_b16 v84, v29 offset:40
	;; [unrolled: 3-line block ×8, first 2 shown]
	s_and_saveexec_b32 s1, s0
	s_cbranch_execz .LBB0_27
; %bb.26:
	v_mov_b32_e32 v22, 1
	v_add_f16_e32 v19, v19, v66
	v_lshlrev_b32_sdwa v23, v22, v30 dst_sel:DWORD dst_unused:UNUSED_PAD src0_sel:DWORD src1_sel:WORD_0
	v_lshlrev_b32_sdwa v22, v22, v50 dst_sel:DWORD dst_unused:UNUSED_PAD src0_sel:DWORD src1_sel:WORD_0
	v_add_f16_e32 v19, v19, v65
	v_add3_u32 v22, 0, v23, v22
	ds_write_b16 v22, v19
	ds_write_b16 v22, v18 offset:20
	ds_write_b16 v22, v17 offset:40
.LBB0_27:
	s_or_b32 exec_lo, exec_lo, s1
	v_mul_lo_u16 v19, 0x89, v21
	v_mov_b32_e32 v25, 0x8889
	v_mov_b32_e32 v24, 4
	s_waitcnt lgkmcnt(0)
	s_barrier
	v_lshrrev_b16 v23, 12, v19
	v_mul_lo_u16 v19, 0x89, v20
	v_mul_u32_u24_sdwa v28, v6, v25 dst_sel:DWORD dst_unused:UNUSED_PAD src0_sel:WORD_0 src1_sel:DWORD
	buffer_gl0_inv
	v_mov_b32_e32 v77, 0x12c
	v_mul_lo_u16 v20, v23, 30
	v_lshrrev_b16 v26, 12, v19
	v_lshrrev_b32_e32 v51, 20, v28
	v_mov_b32_e32 v80, 1
	v_mul_u32_u24_sdwa v23, v23, v77 dst_sel:DWORD dst_unused:UNUSED_PAD src0_sel:WORD_0 src1_sel:DWORD
	v_sub_nc_u16 v29, v7, v20
	v_mul_lo_u16 v19, v26, 30
	v_mul_lo_u16 v28, v51, 30
	v_mul_u32_u24_sdwa v26, v26, v77 dst_sel:DWORD dst_unused:UNUSED_PAD src0_sel:WORD_0 src1_sel:DWORD
	v_mul_u32_u24_e32 v51, 0x12c, v51
	v_lshlrev_b32_sdwa v20, v24, v29 dst_sel:DWORD dst_unused:UNUSED_PAD src0_sel:DWORD src1_sel:BYTE_0
	v_sub_nc_u16 v50, v8, v19
	v_sub_nc_u16 v53, v6, v28
	v_lshlrev_b32_sdwa v29, v80, v29 dst_sel:DWORD dst_unused:UNUSED_PAD src0_sel:DWORD src1_sel:BYTE_0
	global_load_dwordx4 v[19:22], v20, s[12:13] offset:80
	v_lshlrev_b32_sdwa v27, v24, v50 dst_sel:DWORD dst_unused:UNUSED_PAD src0_sel:DWORD src1_sel:BYTE_0
	v_lshlrev_b32_sdwa v28, v24, v53 dst_sel:DWORD dst_unused:UNUSED_PAD src0_sel:DWORD src1_sel:WORD_0
	v_lshlrev_b32_sdwa v50, v80, v50 dst_sel:DWORD dst_unused:UNUSED_PAD src0_sel:DWORD src1_sel:BYTE_0
	s_clause 0x1
	global_load_dwordx4 v[61:64], v27, s[12:13] offset:80
	global_load_dwordx4 v[73:76], v28, s[12:13] offset:80
	v_mul_u32_u24_sdwa v27, v9, v25 dst_sel:DWORD dst_unused:UNUSED_PAD src0_sel:WORD_0 src1_sel:DWORD
	v_mul_u32_u24_sdwa v25, v10, v25 dst_sel:DWORD dst_unused:UNUSED_PAD src0_sel:WORD_0 src1_sel:DWORD
	v_lshrrev_b32_e32 v52, 20, v27
	v_lshrrev_b32_e32 v54, 20, v25
	v_mul_lo_u16 v27, v52, 30
	v_mul_lo_u16 v25, v54, 30
	v_mul_u32_u24_e32 v77, 0x12c, v52
	v_mul_u32_u24_e32 v82, 0x12c, v54
	v_add3_u32 v54, 0, v23, v29
	v_sub_nc_u16 v65, v9, v27
	v_sub_nc_u16 v66, v10, v25
	v_add3_u32 v52, 0, v26, v50
	v_lshlrev_b32_sdwa v23, v80, v53 dst_sel:DWORD dst_unused:UNUSED_PAD src0_sel:DWORD src1_sel:WORD_0
	v_lshlrev_b32_sdwa v27, v24, v65 dst_sel:DWORD dst_unused:UNUSED_PAD src0_sel:DWORD src1_sel:WORD_0
	;; [unrolled: 1-line block ×5, first 2 shown]
	v_add3_u32 v53, 0, v51, v23
	s_clause 0x1
	global_load_dwordx4 v[96:99], v27, s[12:13] offset:80
	global_load_dwordx4 v[100:103], v24, s[12:13] offset:80
	ds_read_u16 v28, v5
	ds_read_u16 v67, v0 offset:2880
	ds_read_u16 v30, v0
	ds_read_u16 v25, v0 offset:360
	ds_read_u16 v24, v0 offset:540
	;; [unrolled: 1-line block ×22, first 2 shown]
	v_add3_u32 v51, 0, v77, v26
	v_add3_u32 v50, 0, v82, v29
	s_waitcnt vmcnt(0) lgkmcnt(0)
	s_barrier
	buffer_gl0_inv
	v_mul_f16_sdwa v92, v70, v19 dst_sel:DWORD dst_unused:UNUSED_PAD src0_sel:DWORD src1_sel:WORD_1
	v_mul_f16_sdwa v23, v58, v19 dst_sel:DWORD dst_unused:UNUSED_PAD src0_sel:DWORD src1_sel:WORD_1
	;; [unrolled: 1-line block ×16, first 2 shown]
	v_fmac_f16_e32 v92, v58, v19
	v_fma_f16 v90, v70, v19, -v23
	v_fmac_f16_e32 v93, v59, v20
	v_fma_f16 v91, v72, v20, -v26
	;; [unrolled: 2-line block ×8, first 2 shown]
	v_mul_f16_sdwa v77, v79, v73 dst_sel:DWORD dst_unused:UNUSED_PAD src0_sel:DWORD src1_sel:WORD_1
	v_mul_f16_sdwa v19, v42, v73 dst_sel:DWORD dst_unused:UNUSED_PAD src0_sel:DWORD src1_sel:WORD_1
	;; [unrolled: 1-line block ×23, first 2 shown]
	v_fmac_f16_e32 v77, v42, v73
	v_fma_f16 v73, v79, v73, -v19
	v_fmac_f16_e32 v71, v43, v74
	v_fma_f16 v74, v105, v74, -v20
	v_fmac_f16_e32 v72, v44, v75
	v_fmac_f16_e32 v78, v47, v76
	;; [unrolled: 1-line block ×3, first 2 shown]
	v_fma_f16 v63, v104, v96, -v23
	v_fmac_f16_e32 v67, v37, v97
	v_fma_f16 v64, v106, v97, -v26
	v_fmac_f16_e32 v68, v38, v98
	;; [unrolled: 2-line block ×3, first 2 shown]
	v_fmac_f16_e32 v61, v41, v100
	v_fmac_f16_e32 v55, v39, v101
	;; [unrolled: 1-line block ×4, first 2 shown]
	v_add_f16_e32 v19, v35, v92
	v_add_f16_e32 v20, v93, v94
	v_sub_f16_e32 v23, v92, v93
	v_sub_f16_e32 v26, v95, v94
	v_add_f16_e32 v29, v92, v95
	v_sub_f16_e32 v36, v93, v92
	v_sub_f16_e32 v37, v94, v95
	v_add_f16_e32 v38, v31, v86
	v_add_f16_e32 v39, v84, v85
	v_sub_f16_e32 v42, v86, v84
	v_sub_f16_e32 v43, v87, v85
	v_add_f16_e32 v44, v86, v87
	v_sub_f16_e32 v45, v84, v86
	v_sub_f16_e32 v46, v85, v87
	v_mul_f16_sdwa v115, v40, v103 dst_sel:DWORD dst_unused:UNUSED_PAD src0_sel:DWORD src1_sel:WORD_1
	v_fma_f16 v75, v107, v75, -v21
	v_fma_f16 v76, v111, v76, -v22
	;; [unrolled: 1-line block ×6, first 2 shown]
	v_sub_f16_e32 v21, v90, v88
	v_sub_f16_e32 v22, v91, v89
	v_sub_f16_e32 v40, v80, v83
	v_sub_f16_e32 v41, v81, v82
	v_add_f16_e32 v19, v19, v93
	v_fma_f16 v20, -0.5, v20, v35
	v_add_f16_e32 v23, v23, v26
	v_fmac_f16_e32 v35, -0.5, v29
	v_add_f16_e32 v26, v36, v37
	v_add_f16_e32 v29, v38, v84
	v_fma_f16 v36, -0.5, v39, v31
	v_add_f16_e32 v37, v42, v43
	v_fmac_f16_e32 v31, -0.5, v44
	v_add_f16_e32 v38, v45, v46
	v_add_f16_e32 v39, v32, v77
	;; [unrolled: 1-line block ×3, first 2 shown]
	v_sub_f16_e32 v45, v77, v71
	v_sub_f16_e32 v46, v78, v72
	v_add_f16_e32 v47, v77, v78
	v_sub_f16_e32 v48, v71, v77
	v_sub_f16_e32 v49, v72, v78
	v_add_f16_e32 v79, v33, v69
	v_add_f16_e32 v96, v67, v68
	;; [unrolled: 1-line block ×5, first 2 shown]
	v_fma_f16 v57, v113, v103, -v115
	v_sub_f16_e32 v43, v73, v76
	v_sub_f16_e32 v44, v74, v75
	;; [unrolled: 1-line block ×6, first 2 shown]
	v_add_f16_e32 v104, v34, v61
	v_sub_f16_e32 v107, v59, v60
	v_add_f16_e32 v113, v19, v94
	v_fmamk_f16 v114, v21, 0xbb9c, v20
	v_fmac_f16_e32 v20, 0x3b9c, v21
	v_fmamk_f16 v115, v22, 0x3b9c, v35
	v_fmac_f16_e32 v35, 0xbb9c, v22
	v_add_f16_e32 v29, v29, v85
	v_fmamk_f16 v116, v40, 0xbb9c, v36
	v_fmac_f16_e32 v36, 0x3b9c, v40
	v_fmamk_f16 v117, v41, 0x3b9c, v31
	v_fmac_f16_e32 v31, 0xbb9c, v41
	v_add_f16_e32 v39, v39, v71
	v_fma_f16 v42, -0.5, v42, v32
	v_add_f16_e32 v45, v45, v46
	v_fmac_f16_e32 v32, -0.5, v47
	v_add_f16_e32 v46, v48, v49
	v_add_f16_e32 v47, v79, v67
	v_fma_f16 v48, -0.5, v96, v33
	v_fmac_f16_e32 v33, -0.5, v101
	v_fma_f16 v19, -0.5, v105, v34
	v_fmac_f16_e32 v34, -0.5, v110
	v_sub_f16_e32 v106, v58, v57
	v_sub_f16_e32 v99, v69, v67
	;; [unrolled: 1-line block ×5, first 2 shown]
	v_add_f16_e32 v79, v102, v103
	v_add_f16_e32 v96, v104, v55
	v_fmac_f16_e32 v114, 0xb8b4, v22
	v_fmac_f16_e32 v20, 0x38b4, v22
	;; [unrolled: 1-line block ×4, first 2 shown]
	v_add_f16_e32 v21, v29, v87
	v_fmac_f16_e32 v116, 0xb8b4, v41
	v_fmac_f16_e32 v36, 0x38b4, v41
	;; [unrolled: 1-line block ×4, first 2 shown]
	v_add_f16_e32 v22, v39, v72
	v_fmamk_f16 v29, v43, 0xbb9c, v42
	v_fmac_f16_e32 v42, 0x3b9c, v43
	v_fmamk_f16 v39, v44, 0x3b9c, v32
	v_fmac_f16_e32 v32, 0xbb9c, v44
	v_add_f16_e32 v40, v47, v68
	v_fmamk_f16 v41, v97, 0xbb9c, v48
	v_fmac_f16_e32 v48, 0x3b9c, v97
	v_fmamk_f16 v47, v98, 0x3b9c, v33
	v_fmamk_f16 v103, v107, 0x3b9c, v34
	v_fmac_f16_e32 v34, 0xbb9c, v107
	v_sub_f16_e32 v108, v61, v55
	v_sub_f16_e32 v109, v62, v56
	v_fmac_f16_e32 v33, 0xbb9c, v98
	v_fmamk_f16 v102, v106, 0xbb9c, v19
	v_fmac_f16_e32 v19, 0x3b9c, v106
	v_add_f16_e32 v49, v99, v100
	v_add_f16_e32 v100, v111, v112
	;; [unrolled: 1-line block ×3, first 2 shown]
	v_fmac_f16_e32 v29, 0xb8b4, v44
	v_fmac_f16_e32 v42, 0x38b4, v44
	;; [unrolled: 1-line block ×8, first 2 shown]
	v_add_f16_e32 v99, v108, v109
	v_add_f16_e32 v101, v113, v95
	v_fmac_f16_e32 v114, 0x34f2, v23
	v_fmac_f16_e32 v33, 0x38b4, v97
	;; [unrolled: 1-line block ×10, first 2 shown]
	v_add_f16_e32 v22, v22, v78
	v_add_f16_e32 v23, v40, v70
	;; [unrolled: 1-line block ×3, first 2 shown]
	v_fmac_f16_e32 v29, 0x34f2, v45
	v_fmac_f16_e32 v42, 0x34f2, v45
	;; [unrolled: 1-line block ×10, first 2 shown]
	ds_write_b16 v54, v101
	v_fmac_f16_e32 v33, 0x34f2, v79
	v_fmac_f16_e32 v102, 0x34f2, v99
	;; [unrolled: 1-line block ×4, first 2 shown]
	ds_write_b16 v54, v114 offset:60
	ds_write_b16 v54, v115 offset:120
	ds_write_b16 v54, v35 offset:180
	ds_write_b16 v54, v20 offset:240
	ds_write_b16 v52, v21
	ds_write_b16 v52, v116 offset:60
	ds_write_b16 v52, v117 offset:120
	ds_write_b16 v52, v31 offset:180
	ds_write_b16 v52, v36 offset:240
	ds_write_b16 v53, v22
	;; [unrolled: 5-line block ×4, first 2 shown]
	ds_write_b16 v50, v102 offset:60
	ds_write_b16 v50, v103 offset:120
	;; [unrolled: 1-line block ×4, first 2 shown]
	s_waitcnt lgkmcnt(0)
	s_barrier
	buffer_gl0_inv
	ds_read_u16 v31, v0
	ds_read_u16 v26, v0 offset:360
	ds_read_u16 v21, v0 offset:540
	;; [unrolled: 1-line block ×21, first 2 shown]
	ds_read_u16 v32, v5
	ds_read_u16 v39, v0 offset:4260
	v_lshl_add_u32 v79, v7, 1, 0
	s_and_saveexec_b32 s1, s0
	s_cbranch_execz .LBB0_29
; %bb.28:
	ds_read_u16 v16, v0 offset:2940
	ds_read_u16 v19, v79 offset:1440
	;; [unrolled: 1-line block ×3, first 2 shown]
.LBB0_29:
	s_or_b32 exec_lo, exec_lo, s1
	v_add_f16_e32 v33, v91, v89
	v_add_f16_e32 v96, v30, v90
	v_sub_f16_e32 v92, v92, v95
	v_sub_f16_e32 v93, v93, v94
	;; [unrolled: 1-line block ×3, first 2 shown]
	v_fma_f16 v95, -0.5, v33, v30
	v_add_f16_e32 v97, v90, v88
	v_sub_f16_e32 v90, v91, v90
	v_add_f16_e32 v91, v96, v91
	v_sub_f16_e32 v33, v88, v89
	v_fmamk_f16 v96, v92, 0x3b9c, v95
	v_sub_f16_e32 v98, v89, v88
	v_fmac_f16_e32 v95, 0xbb9c, v92
	v_add_f16_e32 v89, v91, v89
	v_fmac_f16_e32 v30, -0.5, v97
	v_add_f16_e32 v33, v94, v33
	v_fmac_f16_e32 v96, 0x38b4, v93
	v_fmac_f16_e32 v95, 0xb8b4, v93
	v_add_f16_e32 v88, v89, v88
	v_add_f16_e32 v89, v90, v98
	;; [unrolled: 1-line block ×3, first 2 shown]
	v_fmamk_f16 v91, v93, 0xbb9c, v30
	v_fmac_f16_e32 v96, 0x34f2, v33
	v_fmac_f16_e32 v95, 0x34f2, v33
	;; [unrolled: 1-line block ×3, first 2 shown]
	v_add_f16_e32 v33, v90, v81
	v_add_f16_e32 v94, v81, v82
	v_fmac_f16_e32 v91, 0x38b4, v92
	v_add_f16_e32 v93, v80, v83
	v_fmac_f16_e32 v30, 0xb8b4, v92
	v_add_f16_e32 v33, v33, v82
	v_fma_f16 v94, -0.5, v94, v28
	v_fmac_f16_e32 v91, 0x34f2, v89
	v_sub_f16_e32 v84, v84, v85
	v_sub_f16_e32 v85, v80, v81
	;; [unrolled: 1-line block ×3, first 2 shown]
	v_fmac_f16_e32 v28, -0.5, v93
	v_fmac_f16_e32 v30, 0x34f2, v89
	v_add_f16_e32 v89, v33, v83
	v_sub_f16_e32 v33, v81, v80
	v_sub_f16_e32 v80, v82, v83
	v_add_f16_e32 v81, v25, v73
	v_add_f16_e32 v82, v74, v75
	v_sub_f16_e32 v86, v86, v87
	v_add_f16_e32 v85, v85, v90
	v_fmamk_f16 v90, v84, 0xbb9c, v28
	v_add_f16_e32 v33, v33, v80
	v_fmac_f16_e32 v28, 0x3b9c, v84
	v_add_f16_e32 v80, v81, v74
	v_fma_f16 v81, -0.5, v82, v25
	v_sub_f16_e32 v77, v77, v78
	v_add_f16_e32 v82, v73, v76
	v_fmac_f16_e32 v90, 0x38b4, v86
	v_fmac_f16_e32 v28, 0xb8b4, v86
	v_add_f16_e32 v78, v80, v75
	v_fmamk_f16 v80, v77, 0x3b9c, v81
	v_sub_f16_e32 v71, v71, v72
	v_sub_f16_e32 v72, v73, v74
	;; [unrolled: 1-line block ×3, first 2 shown]
	v_fmac_f16_e32 v25, -0.5, v82
	v_fmac_f16_e32 v81, 0xbb9c, v77
	v_sub_f16_e32 v73, v74, v73
	v_sub_f16_e32 v74, v75, v76
	v_add_f16_e32 v75, v64, v65
	v_fmac_f16_e32 v90, 0x34f2, v33
	v_fmac_f16_e32 v28, 0x34f2, v33
	;; [unrolled: 1-line block ×3, first 2 shown]
	v_add_f16_e32 v33, v72, v83
	v_fmamk_f16 v72, v71, 0xbb9c, v25
	v_fmac_f16_e32 v81, 0xb8b4, v71
	v_add_f16_e32 v73, v73, v74
	v_fmac_f16_e32 v25, 0x3b9c, v71
	v_add_f16_e32 v71, v24, v63
	v_fma_f16 v74, -0.5, v75, v24
	v_sub_f16_e32 v69, v69, v70
	v_fmac_f16_e32 v80, 0x34f2, v33
	v_fmac_f16_e32 v81, 0x34f2, v33
	v_add_f16_e32 v33, v71, v64
	v_sub_f16_e32 v67, v67, v68
	v_fmamk_f16 v70, v69, 0x3b9c, v74
	v_sub_f16_e32 v68, v63, v64
	v_sub_f16_e32 v71, v66, v65
	v_fmac_f16_e32 v74, 0xbb9c, v69
	v_add_f16_e32 v75, v63, v66
	v_add_f16_e32 v33, v33, v65
	v_fmac_f16_e32 v70, 0x38b4, v67
	v_add_f16_e32 v68, v68, v71
	v_fmac_f16_e32 v74, 0xb8b4, v67
	v_fmac_f16_e32 v24, -0.5, v75
	v_sub_f16_e32 v63, v64, v63
	v_sub_f16_e32 v64, v65, v66
	v_add_f16_e32 v65, v27, v58
	v_add_f16_e32 v71, v33, v66
	v_fmac_f16_e32 v70, 0x34f2, v68
	v_fmac_f16_e32 v74, 0x34f2, v68
	v_fmamk_f16 v68, v67, 0xbb9c, v24
	v_add_f16_e32 v33, v59, v60
	v_fmac_f16_e32 v24, 0x3b9c, v67
	v_sub_f16_e32 v61, v61, v62
	v_add_f16_e32 v62, v63, v64
	v_add_f16_e32 v63, v65, v59
	v_add_f16_e32 v65, v58, v57
	v_fma_f16 v33, -0.5, v33, v27
	v_fmac_f16_e32 v68, 0x38b4, v69
	v_fmac_f16_e32 v24, 0xb8b4, v69
	v_sub_f16_e32 v55, v55, v56
	v_fmac_f16_e32 v27, -0.5, v65
	v_fmamk_f16 v64, v61, 0x3b9c, v33
	v_fmac_f16_e32 v68, 0x34f2, v62
	v_fmac_f16_e32 v24, 0x34f2, v62
	v_add_f16_e32 v56, v63, v60
	v_sub_f16_e32 v62, v58, v59
	v_sub_f16_e32 v63, v57, v60
	v_fmac_f16_e32 v33, 0xbb9c, v61
	v_fmamk_f16 v65, v55, 0xbb9c, v27
	v_sub_f16_e32 v58, v59, v58
	v_sub_f16_e32 v59, v60, v57
	v_fmac_f16_e32 v27, 0x3b9c, v55
	v_fmamk_f16 v87, v86, 0x3b9c, v94
	v_fmac_f16_e32 v94, 0xbb9c, v86
	v_fmac_f16_e32 v25, 0xb8b4, v77
	;; [unrolled: 1-line block ×3, first 2 shown]
	v_add_f16_e32 v60, v62, v63
	v_fmac_f16_e32 v33, 0xb8b4, v55
	v_fmac_f16_e32 v65, 0x38b4, v61
	v_add_f16_e32 v55, v58, v59
	v_fmac_f16_e32 v27, 0xb8b4, v61
	v_fmac_f16_e32 v87, 0x38b4, v84
	;; [unrolled: 1-line block ×5, first 2 shown]
	v_add_f16_e32 v56, v56, v57
	v_fmac_f16_e32 v64, 0x34f2, v60
	v_fmac_f16_e32 v65, 0x34f2, v55
	;; [unrolled: 1-line block ×5, first 2 shown]
	v_add_f16_e32 v78, v78, v76
	v_fmac_f16_e32 v72, 0x34f2, v73
	v_fmac_f16_e32 v33, 0x34f2, v60
	s_waitcnt lgkmcnt(0)
	s_barrier
	buffer_gl0_inv
	ds_write_b16 v54, v88
	ds_write_b16 v54, v96 offset:60
	ds_write_b16 v54, v91 offset:120
	ds_write_b16 v54, v30 offset:180
	ds_write_b16 v54, v95 offset:240
	ds_write_b16 v52, v89
	ds_write_b16 v52, v87 offset:60
	ds_write_b16 v52, v90 offset:120
	ds_write_b16 v52, v28 offset:180
	ds_write_b16 v52, v94 offset:240
	;; [unrolled: 5-line block ×5, first 2 shown]
	s_waitcnt lgkmcnt(0)
	s_barrier
	buffer_gl0_inv
	ds_read_u16 v24, v0
	ds_read_u16 v25, v0 offset:360
	ds_read_u16 v27, v0 offset:540
	;; [unrolled: 1-line block ×21, first 2 shown]
	ds_read_u16 v52, v5
	ds_read_u16 v58, v0 offset:4260
	s_and_saveexec_b32 s1, s0
	s_cbranch_execz .LBB0_31
; %bb.30:
	ds_read_u16 v18, v0 offset:2940
	ds_read_u16 v33, v79 offset:1440
	;; [unrolled: 1-line block ×3, first 2 shown]
.LBB0_31:
	s_or_b32 exec_lo, exec_lo, s1
	v_subrev_nc_u32_e32 v67, 60, v7
	v_cmp_gt_u32_e64 s1, 60, v7
	v_lshlrev_b32_e32 v70, 1, v7
	v_mov_b32_e32 v71, 0
	v_lshrrev_b16 v74, 1, v9
	v_mov_b32_e32 v80, 0xda75
	v_cndmask_b32_e64 v67, v67, v8, s1
	v_add_nc_u32_e32 v76, 60, v70
	v_lshlrev_b64 v[72:73], 2, v[70:71]
	v_mov_b32_e32 v75, v71
	v_mul_u32_u24_sdwa v78, v74, v80 dst_sel:DWORD dst_unused:UNUSED_PAD src0_sel:WORD_0 src1_sel:DWORD
	v_lshlrev_b32_e32 v74, 1, v67
	v_mov_b32_e32 v77, v71
	v_add_nc_u32_e32 v70, 0, v70
	v_add_co_u32 v72, s1, s12, v72
	v_lshrrev_b32_e32 v67, 22, v78
	v_lshlrev_b64 v[78:79], 2, v[74:75]
	v_add_co_ci_u32_e64 v73, s1, s13, v73, s1
	global_load_dwordx2 v[84:85], v[72:73], off offset:560
	v_mul_lo_u16 v73, 0x96, v67
	v_add_co_u32 v75, s1, s12, v78
	v_lshrrev_b16 v78, 1, v10
	v_lshlrev_b64 v[71:72], 2, v[76:77]
	v_add_co_ci_u32_e64 v76, s1, s13, v79, s1
	v_sub_nc_u16 v73, v9, v73
	v_mov_b32_e32 v77, 3
	v_mul_u32_u24_sdwa v78, v78, v80 dst_sel:DWORD dst_unused:UNUSED_PAD src0_sel:WORD_0 src1_sel:DWORD
	v_add_co_u32 v71, s1, s12, v71
	v_add_co_ci_u32_e64 v72, s1, s13, v72, s1
	v_lshrrev_b16 v79, 1, v13
	v_lshlrev_b32_sdwa v81, v77, v73 dst_sel:DWORD dst_unused:UNUSED_PAD src0_sel:DWORD src1_sel:WORD_0
	global_load_dwordx2 v[86:87], v[75:76], off offset:560
	v_lshrrev_b32_e32 v75, 22, v78
	s_clause 0x1
	global_load_dwordx2 v[88:89], v[71:72], off offset:560
	global_load_dwordx2 v[90:91], v81, s[12:13] offset:560
	v_mul_u32_u24_sdwa v76, v79, v80 dst_sel:DWORD dst_unused:UNUSED_PAD src0_sel:WORD_0 src1_sel:DWORD
	v_lshrrev_b16 v71, 1, v12
	v_lshrrev_b16 v72, 1, v11
	v_mul_lo_u16 v75, 0x96, v75
	v_lshrrev_b16 v78, 1, v14
	v_lshrrev_b32_e32 v76, 22, v76
	v_mul_u32_u24_sdwa v71, v71, v80 dst_sel:DWORD dst_unused:UNUSED_PAD src0_sel:WORD_0 src1_sel:DWORD
	v_mul_u32_u24_sdwa v72, v72, v80 dst_sel:DWORD dst_unused:UNUSED_PAD src0_sel:WORD_0 src1_sel:DWORD
	v_sub_nc_u16 v75, v10, v75
	v_mul_u32_u24_sdwa v78, v78, v80 dst_sel:DWORD dst_unused:UNUSED_PAD src0_sel:WORD_0 src1_sel:DWORD
	v_mul_lo_u16 v76, 0x96, v76
	v_lshrrev_b32_e32 v71, 22, v71
	v_lshrrev_b32_e32 v72, 22, v72
	v_and_b32_e32 v79, 0xffff, v75
	v_lshrrev_b32_e32 v75, 22, v78
	v_sub_nc_u16 v13, v13, v76
	v_mul_lo_u16 v71, 0x96, v71
	v_mul_lo_u16 v76, 0x96, v72
	v_lshlrev_b32_e32 v78, 3, v79
	v_mul_lo_u16 v75, 0x96, v75
	v_and_b32_e32 v13, 0xffff, v13
	v_sub_nc_u16 v12, v12, v71
	v_sub_nc_u16 v11, v11, v76
	global_load_dwordx2 v[92:93], v78, s[12:13] offset:560
	v_sub_nc_u16 v14, v14, v75
	v_lshlrev_b32_e32 v71, 3, v13
	v_and_b32_e32 v12, 0xffff, v12
	v_lshlrev_b32_sdwa v75, v77, v11 dst_sel:DWORD dst_unused:UNUSED_PAD src0_sel:DWORD src1_sel:WORD_0
	v_cmp_lt_u32_e64 s1, 59, v7
	v_and_b32_e32 v14, 0xffff, v14
	global_load_dwordx2 v[94:95], v71, s[12:13] offset:560
	v_mul_u32_u24_e32 v72, 0x384, v72
	global_load_dwordx2 v[96:97], v75, s[12:13] offset:560
	v_lshlrev_b32_e32 v71, 3, v12
	v_lshlrev_b32_e32 v75, 3, v14
	s_clause 0x1
	global_load_dwordx2 v[98:99], v71, s[12:13] offset:560
	global_load_dwordx2 v[100:101], v75, s[12:13] offset:560
	v_mov_b32_e32 v71, 1
	v_cndmask_b32_e64 v75, 0, 0x384, s1
	v_mul_u32_u24_e32 v67, 0x384, v67
	s_waitcnt vmcnt(0) lgkmcnt(0)
	s_barrier
	v_lshlrev_b32_sdwa v11, v71, v11 dst_sel:DWORD dst_unused:UNUSED_PAD src0_sel:DWORD src1_sel:WORD_0
	v_lshlrev_b32_sdwa v73, v71, v73 dst_sel:DWORD dst_unused:UNUSED_PAD src0_sel:DWORD src1_sel:WORD_0
	v_add3_u32 v76, 0, v75, v74
	v_lshl_add_u32 v74, v79, 1, 0
	buffer_gl0_inv
	v_add3_u32 v71, 0, v72, v11
	v_lshl_add_u32 v72, v12, 1, 0
	v_add3_u32 v75, 0, v67, v73
	v_lshl_add_u32 v73, v13, 1, 0
	v_lshl_add_u32 v67, v14, 1, 0
	v_mul_f16_sdwa v81, v68, v84 dst_sel:DWORD dst_unused:UNUSED_PAD src0_sel:DWORD src1_sel:WORD_1
	v_mul_f16_sdwa v83, v69, v85 dst_sel:DWORD dst_unused:UNUSED_PAD src0_sel:DWORD src1_sel:WORD_1
	;; [unrolled: 1-line block ×4, first 2 shown]
	v_fmac_f16_e32 v81, v48, v84
	v_fmac_f16_e32 v83, v49, v85
	v_fma_f16 v84, v68, v84, -v11
	v_fma_f16 v79, v69, v85, -v12
	v_add_f16_e32 v48, v31, v81
	v_add_f16_e32 v49, v81, v83
	v_sub_f16_e32 v102, v84, v79
	v_fmac_f16_e32 v31, -0.5, v49
	v_mul_f16_sdwa v80, v64, v86 dst_sel:DWORD dst_unused:UNUSED_PAD src0_sel:DWORD src1_sel:WORD_1
	v_mul_f16_sdwa v82, v66, v87 dst_sel:DWORD dst_unused:UNUSED_PAD src0_sel:DWORD src1_sel:WORD_1
	;; [unrolled: 1-line block ×12, first 2 shown]
	v_fmac_f16_e32 v80, v45, v86
	v_fmac_f16_e32 v82, v47, v87
	v_fma_f16 v86, v64, v86, -v11
	v_fma_f16 v85, v66, v87, -v12
	v_fmac_f16_e32 v68, v44, v88
	v_fma_f16 v66, v63, v88, -v13
	v_fmac_f16_e32 v69, v46, v89
	v_fma_f16 v63, v65, v89, -v14
	v_add_f16_e32 v44, v48, v83
	v_fmac_f16_e32 v77, v42, v90
	v_fmac_f16_e32 v78, v43, v91
	v_fma_f16 v64, v61, v90, -v103
	v_fma_f16 v61, v62, v91, -v104
	v_fmamk_f16 v105, v102, 0xbaee, v31
	v_add_f16_e32 v106, v80, v82
	v_mul_f16_sdwa v47, v56, v92 dst_sel:DWORD dst_unused:UNUSED_PAD src0_sel:DWORD src1_sel:WORD_1
	v_mul_f16_sdwa v49, v60, v93 dst_sel:DWORD dst_unused:UNUSED_PAD src0_sel:DWORD src1_sel:WORD_1
	;; [unrolled: 1-line block ×4, first 2 shown]
	v_fmac_f16_e32 v31, 0x3aee, v102
	v_fmac_f16_e32 v47, v37, v92
	;; [unrolled: 1-line block ×3, first 2 shown]
	v_mul_f16_sdwa v46, v54, v94 dst_sel:DWORD dst_unused:UNUSED_PAD src0_sel:DWORD src1_sel:WORD_1
	v_mul_f16_sdwa v48, v59, v95 dst_sel:DWORD dst_unused:UNUSED_PAD src0_sel:DWORD src1_sel:WORD_1
	;; [unrolled: 1-line block ×16, first 2 shown]
	v_add_f16_e32 v102, v32, v80
	v_fmac_f16_e32 v46, v35, v94
	v_fmac_f16_e32 v48, v40, v95
	v_fmac_f16_e32 v11, v34, v96
	v_fmac_f16_e32 v13, v36, v97
	v_fmac_f16_e32 v12, v38, v98
	v_fmac_f16_e32 v14, v39, v99
	v_fmac_f16_e32 v42, v16, v100
	v_add_f16_e32 v16, v77, v78
	v_add_f16_e32 v109, v68, v69
	v_sub_f16_e32 v107, v86, v85
	ds_write_b16 v0, v44
	v_fma_f16 v56, v56, v92, -v45
	v_fma_f16 v41, v60, v93, -v62
	v_fmac_f16_e32 v32, -0.5, v106
	ds_write_b16 v0, v105 offset:300
	ds_write_b16 v0, v31 offset:600
	v_add_f16_e32 v31, v47, v49
	v_fma_f16 v54, v54, v94, -v65
	v_fma_f16 v40, v59, v95, -v87
	;; [unrolled: 1-line block ×7, first 2 shown]
	v_fmac_f16_e32 v43, v15, v101
	v_fma_f16 v44, v17, v101, -v104
	v_add_f16_e32 v15, v21, v77
	v_sub_f16_e32 v17, v64, v61
	v_add_f16_e32 v18, v102, v82
	v_fmac_f16_e32 v21, -0.5, v16
	v_add_f16_e32 v55, v46, v48
	v_add_f16_e32 v59, v11, v13
	;; [unrolled: 1-line block ×4, first 2 shown]
	v_sub_f16_e32 v110, v66, v63
	v_fmac_f16_e32 v26, -0.5, v109
	v_add_f16_e32 v16, v20, v47
	v_add_f16_e32 v53, v22, v46
	v_sub_f16_e32 v39, v56, v41
	v_fmamk_f16 v88, v107, 0xbaee, v32
	v_fmac_f16_e32 v20, -0.5, v31
	v_sub_f16_e32 v57, v54, v40
	v_add_f16_e32 v58, v23, v11
	v_sub_f16_e32 v60, v37, v34
	v_add_f16_e32 v62, v29, v12
	v_sub_f16_e32 v87, v36, v35
	v_fmac_f16_e32 v32, 0x3aee, v107
	ds_write_b16 v76, v18
	v_fmamk_f16 v18, v17, 0xbaee, v21
	v_fmac_f16_e32 v22, -0.5, v55
	v_fmac_f16_e32 v23, -0.5, v59
	;; [unrolled: 1-line block ×3, first 2 shown]
	v_add_f16_e32 v38, v108, v69
	v_fmac_f16_e32 v21, 0x3aee, v17
	v_fmamk_f16 v89, v110, 0xbaee, v26
	v_add_f16_e32 v16, v16, v49
	v_add_f16_e32 v15, v15, v78
	v_fmac_f16_e32 v26, 0x3aee, v110
	v_add_f16_e32 v17, v53, v48
	ds_write_b16 v76, v88 offset:300
	ds_write_b16 v76, v32 offset:600
	;; [unrolled: 1-line block ×5, first 2 shown]
	ds_write_b16 v75, v15
	v_fmamk_f16 v15, v39, 0xbaee, v20
	v_add_f16_e32 v31, v58, v13
	v_add_f16_e32 v53, v62, v14
	v_fmac_f16_e32 v20, 0x3aee, v39
	v_fmamk_f16 v26, v57, 0xbaee, v22
	v_fmac_f16_e32 v22, 0x3aee, v57
	v_fmamk_f16 v32, v60, 0xbaee, v23
	;; [unrolled: 2-line block ×3, first 2 shown]
	v_fmac_f16_e32 v29, 0x3aee, v87
	ds_write_b16 v75, v18 offset:300
	ds_write_b16 v75, v21 offset:600
	;; [unrolled: 1-line block ×8, first 2 shown]
	ds_write_b16 v71, v31
	ds_write_b16 v71, v32 offset:300
	ds_write_b16 v71, v23 offset:600
	ds_write_b16 v72, v53 offset:3600
	ds_write_b16 v72, v38 offset:3900
	ds_write_b16 v72, v29 offset:4200
	s_and_saveexec_b32 s1, s0
	s_cbranch_execz .LBB0_33
; %bb.32:
	v_add_f16_e32 v15, v42, v43
	v_add_f16_e32 v17, v19, v42
	v_sub_f16_e32 v16, v45, v44
	v_fma_f16 v15, -0.5, v15, v19
	v_add_f16_e32 v17, v17, v43
	v_fmamk_f16 v18, v16, 0x3aee, v15
	v_fmac_f16_e32 v15, 0xbaee, v16
	ds_write_b16 v67, v17 offset:3600
	ds_write_b16 v67, v15 offset:3900
	;; [unrolled: 1-line block ×3, first 2 shown]
.LBB0_33:
	s_or_b32 exec_lo, exec_lo, s1
	v_add_f16_e32 v15, v84, v79
	v_add_f16_e32 v16, v24, v84
	v_sub_f16_e32 v17, v81, v83
	v_add_f16_e32 v18, v86, v85
	v_sub_f16_e32 v19, v80, v82
	v_fmac_f16_e32 v24, -0.5, v15
	v_add_f16_e32 v15, v52, v86
	v_add_f16_e32 v53, v16, v79
	;; [unrolled: 1-line block ×3, first 2 shown]
	v_fmac_f16_e32 v52, -0.5, v18
	v_fmamk_f16 v55, v17, 0x3aee, v24
	v_add_f16_e32 v57, v15, v85
	v_add_f16_e32 v15, v66, v63
	v_fmac_f16_e32 v24, 0xbaee, v17
	v_add_f16_e32 v17, v64, v61
	v_add_f16_e32 v59, v16, v63
	;; [unrolled: 1-line block ×3, first 2 shown]
	v_fmac_f16_e32 v25, -0.5, v15
	v_sub_f16_e32 v15, v68, v69
	v_fmac_f16_e32 v27, -0.5, v17
	v_sub_f16_e32 v17, v77, v78
	v_add_f16_e32 v61, v16, v61
	v_add_f16_e32 v16, v28, v56
	v_fmamk_f16 v60, v15, 0x3aee, v25
	v_fmac_f16_e32 v25, 0xbaee, v15
	v_add_f16_e32 v15, v56, v41
	v_fmamk_f16 v62, v17, 0x3aee, v27
	v_fmac_f16_e32 v27, 0xbaee, v17
	v_add_f16_e32 v17, v54, v40
	v_sub_f16_e32 v11, v11, v13
	v_fmac_f16_e32 v28, -0.5, v15
	v_sub_f16_e32 v15, v47, v49
	v_add_f16_e32 v47, v16, v41
	v_add_f16_e32 v16, v30, v54
	v_fmac_f16_e32 v30, -0.5, v17
	v_sub_f16_e32 v17, v46, v48
	v_fmamk_f16 v46, v15, 0x3aee, v28
	v_fmac_f16_e32 v28, 0xbaee, v15
	v_add_f16_e32 v48, v16, v40
	v_add_f16_e32 v15, v37, v34
	;; [unrolled: 1-line block ×3, first 2 shown]
	v_fmamk_f16 v49, v17, 0x3aee, v30
	v_fmac_f16_e32 v30, 0xbaee, v17
	v_add_f16_e32 v17, v50, v37
	v_fmac_f16_e32 v50, -0.5, v15
	v_add_f16_e32 v13, v51, v36
	v_fmac_f16_e32 v51, -0.5, v16
	v_sub_f16_e32 v12, v12, v14
	v_fmamk_f16 v58, v19, 0x3aee, v52
	v_fmac_f16_e32 v52, 0xbaee, v19
	v_add_f16_e32 v54, v17, v34
	v_fmamk_f16 v56, v11, 0x3aee, v50
	v_fmac_f16_e32 v50, 0xbaee, v11
	v_add_f16_e32 v63, v13, v35
	v_fmamk_f16 v64, v12, 0x3aee, v51
	v_fmac_f16_e32 v51, 0xbaee, v12
	s_waitcnt lgkmcnt(0)
	s_barrier
	buffer_gl0_inv
	ds_read_u16 v12, v5
	ds_read_u16 v15, v0 offset:2880
	ds_read_u16 v11, v0
	ds_read_u16 v19, v0 offset:360
	ds_read_u16 v29, v0 offset:540
	;; [unrolled: 1-line block ×22, first 2 shown]
	s_waitcnt lgkmcnt(0)
	s_barrier
	buffer_gl0_inv
	ds_write_b16 v0, v53
	ds_write_b16 v0, v55 offset:300
	ds_write_b16 v0, v24 offset:600
	ds_write_b16 v76, v57
	ds_write_b16 v76, v58 offset:300
	ds_write_b16 v76, v52 offset:600
	;; [unrolled: 1-line block ×5, first 2 shown]
	ds_write_b16 v75, v61
	ds_write_b16 v75, v62 offset:300
	ds_write_b16 v75, v27 offset:600
	;; [unrolled: 1-line block ×8, first 2 shown]
	ds_write_b16 v71, v54
	ds_write_b16 v71, v56 offset:300
	ds_write_b16 v71, v50 offset:600
	ds_write_b16 v72, v63 offset:3600
	ds_write_b16 v72, v64 offset:3900
	ds_write_b16 v72, v51 offset:4200
	s_and_saveexec_b32 s1, s0
	s_cbranch_execz .LBB0_35
; %bb.34:
	v_add_f16_e32 v24, v45, v44
	v_add_f16_e32 v25, v33, v45
	v_sub_f16_e32 v27, v42, v43
	v_fmac_f16_e32 v33, -0.5, v24
	v_add_f16_e32 v24, v25, v44
	v_fmamk_f16 v25, v27, 0x3aee, v33
	v_fmamk_f16 v27, v27, 0xbaee, v33
	ds_write_b16 v67, v24 offset:3600
	ds_write_b16 v67, v25 offset:3900
	;; [unrolled: 1-line block ×3, first 2 shown]
.LBB0_35:
	s_or_b32 exec_lo, exec_lo, s1
	s_waitcnt lgkmcnt(0)
	s_barrier
	buffer_gl0_inv
	s_and_saveexec_b32 s0, vcc_lo
	s_cbranch_execz .LBB0_37
; %bb.36:
	v_lshlrev_b32_e32 v24, 2, v10
	v_mov_b32_e32 v25, 0
	v_mul_lo_u32 v4, s4, v4
	v_mad_u64_u32 v[62:63], null, s4, v3, 0
	v_lshlrev_b64 v[1:2], 2, v[1:2]
	v_lshlrev_b64 v[27:28], 2, v[24:25]
	v_lshlrev_b32_e32 v24, 2, v9
	v_lshlrev_b64 v[9:10], 2, v[24:25]
	v_add_co_u32 v27, vcc_lo, s12, v27
	v_add_co_ci_u32_e32 v28, vcc_lo, s13, v28, vcc_lo
	v_lshlrev_b32_e32 v24, 2, v6
	v_add_co_u32 v9, vcc_lo, s12, v9
	v_add_co_ci_u32_e32 v10, vcc_lo, s13, v10, vcc_lo
	global_load_dwordx4 v[42:45], v[27:28], off offset:1760
	v_mul_lo_u32 v6, s5, v3
	global_load_dwordx4 v[46:49], v[9:10], off offset:1760
	v_lshlrev_b64 v[9:10], 2, v[24:25]
	v_lshlrev_b32_e32 v24, 2, v8
	v_add3_u32 v63, v63, v4, v6
	v_add_co_u32 v9, vcc_lo, s12, v9
	v_add_co_ci_u32_e32 v10, vcc_lo, s13, v10, vcc_lo
	global_load_dwordx4 v[50:53], v[9:10], off offset:1760
	v_lshlrev_b64 v[8:9], 2, v[24:25]
	v_lshlrev_b32_e32 v24, 2, v7
	v_add_co_u32 v8, vcc_lo, s12, v8
	v_add_co_ci_u32_e32 v9, vcc_lo, s13, v9, vcc_lo
	global_load_dwordx4 v[54:57], v[8:9], off offset:1760
	v_lshlrev_b64 v[8:9], 2, v[24:25]
	v_add_co_u32 v8, vcc_lo, s12, v8
	v_add_co_ci_u32_e32 v9, vcc_lo, s13, v9, vcc_lo
	global_load_dwordx4 v[58:61], v[8:9], off offset:1760
	ds_read_u16 v3, v0 offset:2520
	ds_read_u16 v8, v0 offset:1620
	;; [unrolled: 1-line block ×10, first 2 shown]
	ds_read_u16 v64, v5
	ds_read_u16 v65, v0 offset:2880
	ds_read_u16 v66, v0 offset:2700
	ds_read_u16 v5, v0 offset:2340
	ds_read_u16 v67, v0 offset:2160
	ds_read_u16 v68, v0 offset:1980
	ds_read_u16 v69, v0 offset:1800
	ds_read_u16 v70, v0 offset:1440
	ds_read_u16 v71, v0 offset:1260
	ds_read_u16 v72, v0 offset:1080
	ds_read_u16 v73, v0 offset:900
	ds_read_u16 v74, v0 offset:720
	ds_read_u16 v75, v0 offset:540
	ds_read_u16 v76, v0 offset:360
	ds_read_u16 v77, v0
	s_waitcnt vmcnt(4)
	v_mul_f16_sdwa v0, v39, v43 dst_sel:DWORD dst_unused:UNUSED_PAD src0_sel:DWORD src1_sel:WORD_1
	v_mul_f16_sdwa v4, v38, v42 dst_sel:DWORD dst_unused:UNUSED_PAD src0_sel:DWORD src1_sel:WORD_1
	;; [unrolled: 1-line block ×4, first 2 shown]
	s_waitcnt lgkmcnt(24)
	v_mul_f16_sdwa v79, v3, v43 dst_sel:DWORD dst_unused:UNUSED_PAD src0_sel:DWORD src1_sel:WORD_1
	s_waitcnt lgkmcnt(17)
	v_mul_f16_sdwa v80, v27, v44 dst_sel:DWORD dst_unused:UNUSED_PAD src0_sel:DWORD src1_sel:WORD_1
	v_mul_f16_sdwa v81, v8, v42 dst_sel:DWORD dst_unused:UNUSED_PAD src0_sel:DWORD src1_sel:WORD_1
	;; [unrolled: 1-line block ×3, first 2 shown]
	v_fma_f16 v3, v43, v3, -v0
	v_fma_f16 v0, v42, v8, -v4
	v_fma_f16 v27, v44, v27, -v6
	v_fma_f16 v78, v45, v9, -v78
	v_fmac_f16_e32 v79, v39, v43
	v_fmac_f16_e32 v80, v41, v44
	;; [unrolled: 1-line block ×4, first 2 shown]
	s_waitcnt vmcnt(3)
	v_mul_f16_sdwa v4, v35, v47 dst_sel:DWORD dst_unused:UNUSED_PAD src0_sel:DWORD src1_sel:WORD_1
	v_mul_f16_sdwa v6, v34, v46 dst_sel:DWORD dst_unused:UNUSED_PAD src0_sel:DWORD src1_sel:WORD_1
	;; [unrolled: 1-line block ×3, first 2 shown]
	s_waitcnt lgkmcnt(11)
	v_mul_f16_sdwa v38, v5, v47 dst_sel:DWORD dst_unused:UNUSED_PAD src0_sel:DWORD src1_sel:WORD_1
	s_waitcnt lgkmcnt(7)
	v_mul_f16_sdwa v40, v70, v46 dst_sel:DWORD dst_unused:UNUSED_PAD src0_sel:DWORD src1_sel:WORD_1
	v_mul_f16_sdwa v9, v37, v49 dst_sel:DWORD dst_unused:UNUSED_PAD src0_sel:DWORD src1_sel:WORD_1
	;; [unrolled: 1-line block ×4, first 2 shown]
	v_add_f16_e32 v45, v0, v78
	v_sub_f16_e32 v83, v81, v82
	v_add_f16_e32 v86, v3, v27
	s_waitcnt lgkmcnt(3)
	v_add_f16_e32 v87, v0, v74
	v_sub_f16_e32 v88, v79, v81
	v_add_f16_e32 v91, v81, v82
	v_sub_f16_e32 v93, v81, v79
	v_add_f16_e32 v95, v79, v80
	v_add_f16_e32 v81, v32, v81
	v_fma_f16 v96, v47, v5, -v4
	v_fma_f16 v6, v46, v70, -v6
	;; [unrolled: 1-line block ×3, first 2 shown]
	v_fmac_f16_e32 v38, v35, v47
	v_fmac_f16_e32 v40, v34, v46
	s_waitcnt vmcnt(2)
	v_mul_f16_sdwa v8, v21, v51 dst_sel:DWORD dst_unused:UNUSED_PAD src0_sel:DWORD src1_sel:WORD_1
	v_mul_f16_sdwa v35, v67, v51 dst_sel:DWORD dst_unused:UNUSED_PAD src0_sel:DWORD src1_sel:WORD_1
	;; [unrolled: 1-line block ×3, first 2 shown]
	v_sub_f16_e32 v42, v3, v0
	v_sub_f16_e32 v43, v27, v78
	v_sub_f16_e32 v84, v0, v3
	v_sub_f16_e32 v85, v78, v27
	v_sub_f16_e32 v89, v80, v82
	v_sub_f16_e32 v94, v82, v80
	v_fma_f16 v70, v49, v10, -v9
	v_fmac_f16_e32 v39, v36, v48
	v_fmac_f16_e32 v41, v37, v49
	v_mul_f16_sdwa v9, v20, v50 dst_sel:DWORD dst_unused:UNUSED_PAD src0_sel:DWORD src1_sel:WORD_1
	v_mul_f16_sdwa v10, v22, v52 dst_sel:DWORD dst_unused:UNUSED_PAD src0_sel:DWORD src1_sel:WORD_1
	v_mul_f16_sdwa v34, v31, v53 dst_sel:DWORD dst_unused:UNUSED_PAD src0_sel:DWORD src1_sel:WORD_1
	v_mul_f16_sdwa v36, v30, v52 dst_sel:DWORD dst_unused:UNUSED_PAD src0_sel:DWORD src1_sel:WORD_1
	v_mul_f16_sdwa v37, v71, v50 dst_sel:DWORD dst_unused:UNUSED_PAD src0_sel:DWORD src1_sel:WORD_1
	v_sub_f16_e32 v90, v0, v78
	v_sub_f16_e32 v92, v3, v27
	v_fma_f16 v0, -0.5, v45, v74
	v_fma_f16 v4, -0.5, v86, v74
	v_add_f16_e32 v45, v3, v87
	v_fma_f16 v3, -0.5, v91, v32
	v_fma_f16 v5, -0.5, v95, v32
	v_add_f16_e32 v32, v79, v81
	v_add_f16_e32 v87, v96, v28
	v_fma_f16 v67, v51, v67, -v8
	v_fmac_f16_e32 v35, v21, v51
	v_fmac_f16_e32 v46, v31, v53
	s_waitcnt vmcnt(1)
	v_mul_f16_sdwa v31, v17, v54 dst_sel:DWORD dst_unused:UNUSED_PAD src0_sel:DWORD src1_sel:WORD_1
	v_mul_f16_sdwa v51, v26, v57 dst_sel:DWORD dst_unused:UNUSED_PAD src0_sel:DWORD src1_sel:WORD_1
	v_sub_f16_e32 v44, v79, v80
	v_add_f16_e32 v42, v42, v43
	v_add_f16_e32 v43, v84, v85
	;; [unrolled: 1-line block ×4, first 2 shown]
	v_sub_f16_e32 v49, v96, v6
	v_sub_f16_e32 v74, v28, v70
	v_add_f16_e32 v81, v6, v70
	v_sub_f16_e32 v84, v40, v41
	s_waitcnt lgkmcnt(2)
	v_add_f16_e32 v88, v6, v75
	v_sub_f16_e32 v89, v38, v40
	v_sub_f16_e32 v91, v39, v41
	v_add_f16_e32 v94, v40, v41
	v_sub_f16_e32 v97, v40, v38
	v_sub_f16_e32 v98, v41, v39
	v_add_f16_e32 v99, v38, v39
	v_add_f16_e32 v40, v29, v40
	v_fma_f16 v71, v50, v71, -v9
	v_fma_f16 v100, v52, v30, -v10
	;; [unrolled: 1-line block ×3, first 2 shown]
	v_fmac_f16_e32 v36, v22, v52
	v_fmac_f16_e32 v37, v20, v50
	v_mul_f16_sdwa v52, v68, v55 dst_sel:DWORD dst_unused:UNUSED_PAD src0_sel:DWORD src1_sel:WORD_1
	v_mul_f16_sdwa v53, v65, v56 dst_sel:DWORD dst_unused:UNUSED_PAD src0_sel:DWORD src1_sel:WORD_1
	;; [unrolled: 1-line block ×4, first 2 shown]
	v_sub_f16_e32 v85, v6, v96
	v_sub_f16_e32 v93, v6, v70
	v_fmamk_f16 v6, v83, 0xbb9c, v4
	v_fmac_f16_e32 v4, 0x3b9c, v83
	v_add_f16_e32 v32, v32, v80
	v_fma_f16 v22, -0.5, v87, v75
	v_fma_f16 v31, v54, v72, -v31
	v_fma_f16 v51, v57, v25, -v51
	v_sub_f16_e32 v86, v70, v28
	v_mul_f16_sdwa v30, v23, v55 dst_sel:DWORD dst_unused:UNUSED_PAD src0_sel:DWORD src1_sel:WORD_1
	v_mul_f16_sdwa v50, v15, v56 dst_sel:DWORD dst_unused:UNUSED_PAD src0_sel:DWORD src1_sel:WORD_1
	v_sub_f16_e32 v95, v96, v28
	v_fmamk_f16 v8, v44, 0x3b9c, v0
	v_fmac_f16_e32 v0, 0xbb9c, v44
	v_add_f16_e32 v27, v27, v45
	v_fmamk_f16 v10, v92, 0xbb9c, v3
	v_fmac_f16_e32 v3, 0x3b9c, v92
	v_add_f16_e32 v45, v49, v74
	v_fma_f16 v20, -0.5, v81, v75
	v_add_f16_e32 v74, v96, v88
	v_add_f16_e32 v75, v89, v91
	v_fma_f16 v21, -0.5, v94, v29
	v_add_f16_e32 v80, v97, v98
	v_fma_f16 v24, -0.5, v99, v29
	v_add_f16_e32 v29, v38, v40
	s_waitcnt lgkmcnt(1)
	v_add_f16_e32 v91, v71, v76
	v_sub_f16_e32 v94, v35, v37
	v_sub_f16_e32 v96, v36, v46
	v_add_f16_e32 v97, v37, v46
	v_sub_f16_e32 v99, v37, v35
	v_sub_f16_e32 v103, v46, v36
	v_fmac_f16_e32 v52, v23, v55
	v_fmac_f16_e32 v53, v15, v56
	;; [unrolled: 1-line block ×4, first 2 shown]
	v_sub_f16_e32 v79, v38, v39
	v_fmac_f16_e32 v6, 0xb8b4, v44
	v_fmac_f16_e32 v4, 0x38b4, v44
	v_add_f16_e32 v17, v32, v82
	v_fmamk_f16 v23, v84, 0xbb9c, v22
	v_fmac_f16_e32 v22, 0x3b9c, v84
	v_add_f16_e32 v82, v31, v51
	v_add_f16_e32 v49, v85, v86
	v_sub_f16_e32 v86, v37, v46
	v_add_f16_e32 v37, v19, v37
	v_fma_f16 v68, v55, v68, -v30
	v_fma_f16 v50, v56, v65, -v50
	s_waitcnt vmcnt(0)
	v_mul_f16_sdwa v54, v16, v59 dst_sel:DWORD dst_unused:UNUSED_PAD src0_sel:DWORD src1_sel:WORD_1
	v_mul_f16_sdwa v55, v13, v58 dst_sel:DWORD dst_unused:UNUSED_PAD src0_sel:DWORD src1_sel:WORD_1
	;; [unrolled: 1-line block ×4, first 2 shown]
	v_fmamk_f16 v9, v90, 0x3b9c, v5
	v_fmac_f16_e32 v5, 0xbb9c, v90
	v_sub_f16_e32 v38, v67, v71
	v_sub_f16_e32 v87, v71, v67
	v_add_f16_e32 v89, v67, v100
	v_sub_f16_e32 v98, v67, v100
	v_fmac_f16_e32 v8, 0xb8b4, v83
	v_fmac_f16_e32 v0, 0x38b4, v83
	;; [unrolled: 1-line block ×4, first 2 shown]
	v_add_f16_e32 v32, v28, v74
	v_add_f16_e32 v39, v29, v39
	;; [unrolled: 1-line block ×4, first 2 shown]
	v_fma_f16 v29, -0.5, v97, v19
	v_add_f16_e32 v74, v99, v103
	v_sub_f16_e32 v83, v101, v102
	v_sub_f16_e32 v90, v52, v101
	v_add_f16_e32 v94, v101, v102
	v_sub_f16_e32 v97, v101, v52
	v_add_f16_e32 v103, v52, v53
	v_add_f16_e32 v101, v12, v101
	;; [unrolled: 1-line block ×4, first 2 shown]
	v_sub_f16_e32 v78, v52, v53
	v_fmac_f16_e32 v6, 0x34f2, v43
	v_fmac_f16_e32 v4, 0x34f2, v43
	;; [unrolled: 1-line block ×4, first 2 shown]
	v_fma_f16 v43, -0.5, v82, v64
	v_sub_f16_e32 v81, v35, v36
	v_add_f16_e32 v104, v35, v36
	v_mul_f16_sdwa v65, v69, v59 dst_sel:DWORD dst_unused:UNUSED_PAD src0_sel:DWORD src1_sel:WORD_1
	v_mul_f16_sdwa v72, v66, v60 dst_sel:DWORD dst_unused:UNUSED_PAD src0_sel:DWORD src1_sel:WORD_1
	;; [unrolled: 1-line block ×4, first 2 shown]
	v_add_f16_e32 v35, v35, v37
	v_fma_f16 v54, v59, v69, -v54
	v_fma_f16 v55, v58, v73, -v55
	;; [unrolled: 1-line block ×4, first 2 shown]
	v_fmac_f16_e32 v10, 0x34f2, v47
	v_fmac_f16_e32 v3, 0x34f2, v47
	v_fma_f16 v47, -0.5, v94, v12
	v_fma_f16 v57, -0.5, v103, v12
	v_add_f16_e32 v12, v52, v101
	v_fma_f16 v28, -0.5, v85, v76
	v_fma_f16 v30, -0.5, v89, v76
	v_sub_f16_e32 v37, v68, v31
	v_sub_f16_e32 v76, v50, v51
	v_fmac_f16_e32 v23, 0x34f2, v49
	v_fmac_f16_e32 v22, 0x34f2, v49
	v_fmamk_f16 v49, v78, 0x3b9c, v43
	v_fmac_f16_e32 v43, 0xbb9c, v78
	v_sub_f16_e32 v40, v100, v34
	v_sub_f16_e32 v88, v34, v100
	v_fmamk_f16 v26, v79, 0x3b9c, v20
	v_fmac_f16_e32 v20, 0xbb9c, v79
	v_add_f16_e32 v89, v31, v64
	v_fmac_f16_e32 v65, v16, v59
	v_fmac_f16_e32 v72, v14, v60
	;; [unrolled: 1-line block ×3, first 2 shown]
	v_add_f16_e32 v35, v35, v36
	v_sub_f16_e32 v52, v54, v55
	v_sub_f16_e32 v58, v56, v33
	v_add_f16_e32 v60, v55, v33
	v_add_f16_e32 v12, v12, v53
	;; [unrolled: 1-line block ×3, first 2 shown]
	v_fmac_f16_e32 v49, 0xb8b4, v83
	v_fmac_f16_e32 v43, 0x38b4, v83
	v_add_f16_e32 v38, v38, v40
	v_add_f16_e32 v40, v87, v88
	v_sub_f16_e32 v85, v31, v68
	v_add_f16_e32 v88, v68, v50
	v_sub_f16_e32 v96, v68, v50
	v_fmac_f16_e32 v106, v18, v61
	v_fmac_f16_e32 v26, 0xb8b4, v84
	;; [unrolled: 1-line block ×3, first 2 shown]
	v_add_f16_e32 v14, v39, v41
	v_add_f16_e32 v39, v100, v44
	;; [unrolled: 1-line block ×3, first 2 shown]
	v_sub_f16_e32 v59, v65, v72
	v_add_f16_e32 v68, v54, v56
	v_add_f16_e32 v46, v35, v46
	;; [unrolled: 1-line block ×3, first 2 shown]
	s_waitcnt lgkmcnt(0)
	v_fma_f16 v52, -0.5, v60, v77
	v_sub_f16_e32 v91, v53, v102
	v_sub_f16_e32 v99, v102, v53
	v_add_f16_e32 v53, v12, v102
	v_add_f16_e32 v12, v55, v77
	v_fmac_f16_e32 v49, 0x34f2, v36
	v_fmac_f16_e32 v43, 0x34f2, v36
	v_mul_hi_u32 v36, 0x91a2b3c5, v7
	v_sub_f16_e32 v71, v71, v34
	v_fma_f16 v44, -0.5, v88, v64
	v_sub_f16_e32 v61, v105, v106
	v_fmac_f16_e32 v26, 0x34f2, v45
	v_fmac_f16_e32 v20, 0x34f2, v45
	v_add_f16_e32 v45, v34, v39
	v_add_f16_e32 v34, v50, v41
	v_fma_f16 v41, -0.5, v68, v77
	v_fmamk_f16 v58, v59, 0x3b9c, v52
	v_fmac_f16_e32 v52, 0xbb9c, v59
	v_fmamk_f16 v16, v86, 0xbb9c, v30
	v_fmac_f16_e32 v30, 0x3b9c, v86
	v_add_f16_e32 v12, v54, v12
	v_fmac_f16_e32 v9, 0x38b4, v92
	v_fmac_f16_e32 v5, 0xb8b4, v92
	v_sub_f16_e32 v87, v51, v50
	v_sub_f16_e32 v92, v31, v51
	;; [unrolled: 1-line block ×4, first 2 shown]
	v_fmamk_f16 v69, v83, 0xbb9c, v44
	v_fmac_f16_e32 v44, 0x3b9c, v83
	v_fmamk_f16 v50, v96, 0xbb9c, v47
	v_fmac_f16_e32 v47, 0x3b9c, v96
	;; [unrolled: 2-line block ×3, first 2 shown]
	v_fmac_f16_e32 v52, 0x38b4, v61
	v_fmac_f16_e32 v41, 0x3b9c, v61
	;; [unrolled: 1-line block ×4, first 2 shown]
	v_add_f16_e32 v12, v56, v12
	v_lshrrev_b32_e32 v36, 8, v36
	v_fmac_f16_e32 v8, 0x34f2, v42
	v_fmac_f16_e32 v0, 0x34f2, v42
	v_add_f16_e32 v13, v70, v32
	v_fmamk_f16 v31, v81, 0x3b9c, v28
	v_fmac_f16_e32 v28, 0xbb9c, v81
	v_add_f16_e32 v37, v85, v87
	v_add_f16_e32 v42, v90, v91
	v_fmamk_f16 v70, v92, 0x3b9c, v57
	v_fmac_f16_e32 v57, 0xbb9c, v92
	v_fmac_f16_e32 v69, 0xb8b4, v78
	v_fmac_f16_e32 v44, 0x38b4, v78
	v_add_f16_e32 v51, v51, v34
	v_fmac_f16_e32 v50, 0x38b4, v92
	v_fmac_f16_e32 v47, 0xb8b4, v92
	v_fmac_f16_e32 v58, 0x34f2, v35
	v_add_f16_e32 v34, v64, v66
	;; [unrolled: 4-line block ×3, first 2 shown]
	v_fmac_f16_e32 v16, 0x34f2, v40
	v_fmac_f16_e32 v30, 0x34f2, v40
	v_add_f16_e32 v39, v65, v72
	v_add_f16_e32 v40, v33, v12
	v_mul_u32_u24_e32 v12, 0x1c2, v36
	v_fmac_f16_e32 v9, 0x34f2, v48
	v_fmac_f16_e32 v5, 0x34f2, v48
	v_add_f16_e32 v48, v97, v99
	v_fmac_f16_e32 v31, 0xb8b4, v86
	v_fmac_f16_e32 v28, 0x38b4, v86
	;; [unrolled: 1-line block ×10, first 2 shown]
	v_fma_f16 v42, -0.5, v35, v11
	v_sub_f16_e32 v34, v54, v56
	v_sub_f16_e32 v35, v65, v105
	;; [unrolled: 1-line block ×3, first 2 shown]
	v_fma_f16 v54, -0.5, v39, v11
	v_sub_nc_u32_e32 v39, v7, v12
	v_fmac_f16_e32 v31, 0x34f2, v38
	v_fmac_f16_e32 v28, 0x34f2, v38
	;; [unrolled: 1-line block ×4, first 2 shown]
	v_sub_f16_e32 v38, v55, v33
	v_fmamk_f16 v48, v34, 0xbb9c, v42
	v_add_f16_e32 v37, v35, v37
	v_fmac_f16_e32 v42, 0x3b9c, v34
	v_sub_f16_e32 v33, v105, v65
	v_sub_f16_e32 v35, v106, v72
	v_add_f16_e32 v36, v11, v105
	v_mad_u64_u32 v[11:12], null, s2, v39, 0
	v_fmac_f16_e32 v48, 0x38b4, v38
	v_fmamk_f16 v55, v38, 0x3b9c, v54
	v_fmac_f16_e32 v42, 0xb8b4, v38
	v_fmac_f16_e32 v54, 0xbb9c, v38
	v_add_f16_e32 v38, v33, v35
	v_add_f16_e32 v33, v65, v36
	v_add_nc_u32_e32 v56, 0x1c2, v39
	v_fmac_f16_e32 v55, 0x38b4, v34
	v_fmac_f16_e32 v54, 0xb8b4, v34
	v_mad_u64_u32 v[35:36], null, s3, v39, v[12:13]
	v_add_f16_e32 v59, v33, v72
	v_mad_u64_u32 v[33:34], null, s2, v56, 0
	v_fmac_f16_e32 v48, 0x34f2, v37
	v_fmac_f16_e32 v42, 0x34f2, v37
	v_lshlrev_b64 v[36:37], 2, v[62:63]
	v_fmac_f16_e32 v55, 0x34f2, v38
	v_fmac_f16_e32 v54, 0x34f2, v38
	v_add_f16_e32 v38, v59, v106
	v_add_nc_u32_e32 v61, 0x5a, v7
	v_mov_b32_e32 v12, v35
	v_mad_u64_u32 v[34:35], null, s3, v56, v[34:35]
	v_add_co_u32 v35, vcc_lo, s10, v36
	v_add_co_ci_u32_e32 v36, vcc_lo, s11, v37, vcc_lo
	v_add_nc_u32_e32 v37, 0x384, v39
	v_pack_b32_f16 v62, v38, v40
	v_add_nc_u32_e32 v40, 0x546, v39
	v_mul_hi_u32 v38, 0x91a2b3c5, v61
	v_add_co_u32 v56, vcc_lo, v35, v1
	v_add_co_ci_u32_e32 v59, vcc_lo, v36, v2, vcc_lo
	v_mad_u64_u32 v[1:2], null, s2, v37, 0
	v_mad_u64_u32 v[35:36], null, s2, v40, 0
	v_lshlrev_b64 v[11:12], 2, v[11:12]
	v_lshrrev_b32_e32 v64, 8, v38
	v_add_nc_u32_e32 v63, 0x708, v39
	v_lshlrev_b64 v[33:34], 2, v[33:34]
	v_mad_u64_u32 v[37:38], null, s3, v37, v[2:3]
	v_mov_b32_e32 v2, v36
	v_mul_u32_u24_e32 v36, 0x1c2, v64
	v_add_co_u32 v11, vcc_lo, v56, v11
	v_mad_u64_u32 v[38:39], null, s2, v63, 0
	v_add_co_ci_u32_e32 v12, vcc_lo, v59, v12, vcc_lo
	v_add_co_u32 v33, vcc_lo, v56, v33
	v_sub_nc_u32_e32 v36, v61, v36
	v_add_co_ci_u32_e32 v34, vcc_lo, v59, v34, vcc_lo
	v_pack_b32_f16 v54, v54, v41
	global_store_dword v[11:12], v62, off
	global_store_dword v[33:34], v54, off
	v_mov_b32_e32 v11, v39
	v_mad_u32_u24 v54, 0x8ca, v64, v36
	v_mad_u64_u32 v[40:41], null, s3, v40, v[2:3]
	v_mov_b32_e32 v2, v37
	v_mad_u64_u32 v[11:12], null, s3, v63, v[11:12]
	v_mad_u64_u32 v[33:34], null, s2, v54, 0
	v_pack_b32_f16 v52, v42, v52
	v_add_nc_u32_e32 v42, 0x1c2, v54
	v_mov_b32_e32 v36, v40
	v_lshlrev_b64 v[1:2], 2, v[1:2]
	v_mov_b32_e32 v39, v11
	v_pack_b32_f16 v47, v47, v43
	v_mad_u64_u32 v[40:41], null, s2, v42, 0
	v_mov_b32_e32 v11, v34
	v_lshlrev_b64 v[35:36], 2, v[35:36]
	v_add_co_u32 v1, vcc_lo, v56, v1
	v_lshlrev_b64 v[37:38], 2, v[38:39]
	v_mad_u64_u32 v[11:12], null, s3, v54, v[11:12]
	v_add_co_ci_u32_e32 v2, vcc_lo, v59, v2, vcc_lo
	v_add_co_u32 v35, vcc_lo, v56, v35
	v_mov_b32_e32 v12, v41
	v_add_co_ci_u32_e32 v36, vcc_lo, v59, v36, vcc_lo
	v_pack_b32_f16 v39, v48, v58
	v_add_co_u32 v37, vcc_lo, v56, v37
	v_mad_u64_u32 v[41:42], null, s3, v42, v[12:13]
	v_add_co_ci_u32_e32 v38, vcc_lo, v59, v38, vcc_lo
	v_mov_b32_e32 v34, v11
	v_pack_b32_f16 v11, v55, v60
	global_store_dword v[1:2], v52, off
	global_store_dword v[35:36], v39, off
	v_add_nc_u32_e32 v39, 0x384, v54
	v_add_nc_u32_e32 v42, 0x546, v54
	v_pack_b32_f16 v48, v53, v51
	global_store_dword v[37:38], v11, off
	v_add_nc_u32_e32 v51, 0xb4, v7
	v_mad_u64_u32 v[11:12], null, s2, v39, 0
	v_mad_u64_u32 v[35:36], null, s2, v42, 0
	v_lshlrev_b64 v[1:2], 2, v[33:34]
	v_add_nc_u32_e32 v52, 0x708, v54
	v_lshlrev_b64 v[33:34], 2, v[40:41]
	v_mul_hi_u32 v53, 0x91a2b3c5, v51
	v_mad_u64_u32 v[37:38], null, s3, v39, v[12:13]
	v_mov_b32_e32 v12, v36
	v_add_co_u32 v1, vcc_lo, v56, v1
	v_mad_u64_u32 v[38:39], null, s2, v52, 0
	v_add_co_ci_u32_e32 v2, vcc_lo, v59, v2, vcc_lo
	v_add_co_u32 v33, vcc_lo, v56, v33
	v_mad_u64_u32 v[40:41], null, s3, v42, v[12:13]
	v_add_co_ci_u32_e32 v34, vcc_lo, v59, v34, vcc_lo
	v_pack_b32_f16 v36, v57, v44
	v_lshrrev_b32_e32 v41, 8, v53
	global_store_dword v[1:2], v48, off
	global_store_dword v[33:34], v36, off
	v_mov_b32_e32 v1, v39
	v_mul_u32_u24_e32 v33, 0x1c2, v41
	v_mov_b32_e32 v36, v40
	v_mov_b32_e32 v12, v37
	v_pack_b32_f16 v48, v50, v49
	v_mad_u64_u32 v[1:2], null, s3, v52, v[1:2]
	v_sub_nc_u32_e32 v2, v51, v33
	v_lshlrev_b64 v[33:34], 2, v[35:36]
	v_lshlrev_b64 v[11:12], 2, v[11:12]
	v_fma_f16 v19, -0.5, v104, v19
	v_fmamk_f16 v32, v98, 0xbb9c, v29
	v_mad_u32_u24 v44, 0x8ca, v41, v2
	v_mov_b32_e32 v39, v1
	v_fmac_f16_e32 v29, 0x3b9c, v98
	v_add_co_u32 v11, vcc_lo, v56, v11
	v_add_nc_u32_e32 v42, 0x1c2, v44
	v_mad_u64_u32 v[1:2], null, s2, v44, 0
	v_lshlrev_b64 v[35:36], 2, v[38:39]
	v_add_co_ci_u32_e32 v12, vcc_lo, v59, v12, vcc_lo
	v_mad_u64_u32 v[37:38], null, s2, v42, 0
	v_add_co_u32 v33, vcc_lo, v56, v33
	v_mad_u64_u32 v[39:40], null, s3, v44, v[2:3]
	v_add_nc_u32_e32 v49, 0x384, v44
	v_add_co_ci_u32_e32 v34, vcc_lo, v59, v34, vcc_lo
	v_mov_b32_e32 v2, v38
	global_store_dword v[11:12], v47, off
	v_mad_u64_u32 v[40:41], null, s2, v49, 0
	global_store_dword v[33:34], v48, off
	v_mad_u64_u32 v[42:43], null, s3, v42, v[2:3]
	v_mov_b32_e32 v2, v39
	v_add_nc_u32_e32 v39, 0x10e, v7
	v_add_co_u32 v35, vcc_lo, v56, v35
	v_add_co_ci_u32_e32 v36, vcc_lo, v59, v36, vcc_lo
	v_mul_hi_u32 v33, 0x91a2b3c5, v39
	v_pack_b32_f16 v38, v70, v69
	v_mov_b32_e32 v11, v41
	v_add_nc_u32_e32 v43, 0x546, v44
	v_add_nc_u32_e32 v44, 0x708, v44
	v_fmamk_f16 v18, v71, 0x3b9c, v19
	global_store_dword v[35:36], v38, off
	v_mov_b32_e32 v38, v42
	v_lshrrev_b32_e32 v42, 8, v33
	v_mad_u64_u32 v[11:12], null, s3, v49, v[11:12]
	v_fmac_f16_e32 v19, 0xbb9c, v71
	v_lshlrev_b64 v[33:34], 2, v[37:38]
	v_mul_u32_u24_e32 v37, 0x1c2, v42
	v_mad_u64_u32 v[35:36], null, s2, v44, 0
	v_lshlrev_b64 v[1:2], 2, v[1:2]
	v_mov_b32_e32 v41, v11
	v_sub_nc_u32_e32 v39, v39, v37
	v_mad_u64_u32 v[11:12], null, s2, v43, 0
	v_fmac_f16_e32 v19, 0xb8b4, v98
	v_pack_b32_f16 v45, v46, v45
	v_mad_u32_u24 v46, 0x8ca, v42, v39
	v_fmac_f16_e32 v29, 0xb8b4, v71
	v_add_co_u32 v1, vcc_lo, v56, v1
	v_fmac_f16_e32 v19, 0x34f2, v74
	v_lshlrev_b64 v[37:38], 2, v[40:41]
	v_mad_u64_u32 v[39:40], null, s3, v43, v[12:13]
	v_mov_b32_e32 v12, v36
	v_mad_u64_u32 v[40:41], null, s2, v46, 0
	v_add_co_ci_u32_e32 v2, vcc_lo, v59, v2, vcc_lo
	v_fmac_f16_e32 v29, 0x34f2, v67
	v_add_co_u32 v33, vcc_lo, v56, v33
	v_add_co_ci_u32_e32 v34, vcc_lo, v59, v34, vcc_lo
	v_pack_b32_f16 v19, v19, v30
	v_mad_u64_u32 v[42:43], null, s3, v44, v[12:13]
	v_fmac_f16_e32 v32, 0x38b4, v71
	v_add_co_u32 v36, vcc_lo, v56, v37
	v_add_co_ci_u32_e32 v37, vcc_lo, v59, v38, vcc_lo
	v_pack_b32_f16 v28, v29, v28
	global_store_dword v[1:2], v45, off
	global_store_dword v[33:34], v19, off
	v_mov_b32_e32 v1, v41
	v_mov_b32_e32 v12, v39
	v_fmac_f16_e32 v32, 0x34f2, v67
	v_add_nc_u32_e32 v33, 0x1c2, v46
	global_store_dword v[36:37], v28, off
	v_mov_b32_e32 v36, v42
	v_fmac_f16_e32 v18, 0x38b4, v98
	v_mad_u64_u32 v[1:2], null, s3, v46, v[1:2]
	v_lshlrev_b64 v[11:12], 2, v[11:12]
	v_pack_b32_f16 v34, v32, v31
	v_mad_u64_u32 v[30:31], null, s2, v33, 0
	v_lshlrev_b64 v[28:29], 2, v[35:36]
	v_fmac_f16_e32 v18, 0x34f2, v74
	v_add_co_u32 v11, vcc_lo, v56, v11
	v_add_nc_u32_e32 v35, 0x384, v46
	v_mov_b32_e32 v41, v1
	v_add_co_ci_u32_e32 v12, vcc_lo, v59, v12, vcc_lo
	v_add_co_u32 v1, vcc_lo, v56, v28
	v_pack_b32_f16 v36, v18, v16
	v_mov_b32_e32 v16, v31
	v_add_nc_u32_e32 v37, 0x546, v46
	v_add_co_ci_u32_e32 v2, vcc_lo, v59, v29, vcc_lo
	v_mad_u64_u32 v[28:29], null, s2, v35, 0
	v_lshlrev_b64 v[18:19], 2, v[40:41]
	v_mad_u64_u32 v[31:32], null, s3, v33, v[16:17]
	v_mad_u64_u32 v[32:33], null, s2, v37, 0
	v_fmamk_f16 v25, v93, 0x3b9c, v24
	v_add_co_u32 v18, vcc_lo, v56, v18
	v_mov_b32_e32 v16, v29
	v_add_co_ci_u32_e32 v19, vcc_lo, v59, v19, vcc_lo
	v_pack_b32_f16 v29, v14, v13
	v_fmac_f16_e32 v24, 0xbb9c, v93
	global_store_dword v[11:12], v34, off
	global_store_dword v[1:2], v36, off
	;; [unrolled: 1-line block ×3, first 2 shown]
	v_mov_b32_e32 v1, v33
	v_mad_u64_u32 v[13:14], null, s3, v35, v[16:17]
	v_add_nc_u32_e32 v16, 0x168, v7
	v_fmac_f16_e32 v24, 0xb8b4, v95
	v_mad_u64_u32 v[1:2], null, s3, v37, v[1:2]
	v_lshlrev_b64 v[11:12], 2, v[30:31]
	v_add_nc_u32_e32 v30, 0x708, v46
	v_mul_hi_u32 v2, 0x91a2b3c5, v16
	v_fmamk_f16 v27, v95, 0xbb9c, v21
	v_fmac_f16_e32 v21, 0x3b9c, v95
	v_fmac_f16_e32 v24, 0x34f2, v80
	v_mov_b32_e32 v29, v13
	v_mad_u64_u32 v[18:19], null, s2, v30, 0
	v_fmac_f16_e32 v21, 0xb8b4, v93
	v_pack_b32_f16 v22, v24, v22
	v_lshrrev_b32_e32 v24, 8, v2
	v_lshlrev_b64 v[13:14], 2, v[28:29]
	v_add_co_u32 v11, vcc_lo, v56, v11
	v_mov_b32_e32 v33, v1
	v_fmac_f16_e32 v21, 0x34f2, v75
	v_mov_b32_e32 v7, v19
	v_mul_u32_u24_e32 v28, 0x1c2, v24
	v_add_co_ci_u32_e32 v12, vcc_lo, v59, v12, vcc_lo
	v_fmac_f16_e32 v27, 0x38b4, v93
	v_add_co_u32 v1, vcc_lo, v56, v13
	v_add_co_ci_u32_e32 v2, vcc_lo, v59, v14, vcc_lo
	v_lshlrev_b64 v[13:14], 2, v[32:33]
	v_pack_b32_f16 v21, v21, v20
	v_mad_u64_u32 v[19:20], null, s3, v30, v[7:8]
	v_sub_nc_u32_e32 v7, v16, v28
	v_fmac_f16_e32 v27, 0x34f2, v75
	v_add_co_u32 v13, vcc_lo, v56, v13
	v_add_co_ci_u32_e32 v14, vcc_lo, v59, v14, vcc_lo
	v_mad_u32_u24 v24, 0x8ca, v24, v7
	v_pack_b32_f16 v16, v27, v26
	global_store_dword v[11:12], v22, off
	global_store_dword v[1:2], v21, off
	;; [unrolled: 1-line block ×3, first 2 shown]
	v_mad_u64_u32 v[11:12], null, s2, v24, 0
	v_add_nc_u32_e32 v16, 0x1c2, v24
	v_fmac_f16_e32 v25, 0x38b4, v95
	v_add_nc_u32_e32 v26, 0x384, v24
	v_lshlrev_b64 v[1:2], 2, v[18:19]
	v_pack_b32_f16 v0, v3, v0
	v_mad_u64_u32 v[13:14], null, s2, v16, 0
	v_mov_b32_e32 v7, v12
	v_fmac_f16_e32 v25, 0x34f2, v80
	v_mad_u64_u32 v[18:19], null, s2, v26, 0
	v_add_co_u32 v1, vcc_lo, v56, v1
	v_mad_u64_u32 v[20:21], null, s3, v24, v[7:8]
	v_mov_b32_e32 v12, v14
	v_pack_b32_f16 v14, v25, v23
	v_add_nc_u32_e32 v25, 0x546, v24
	v_add_co_ci_u32_e32 v2, vcc_lo, v59, v2, vcc_lo
	v_mad_u64_u32 v[21:22], null, s3, v16, v[12:13]
	v_mad_u64_u32 v[22:23], null, s2, v25, 0
	v_mov_b32_e32 v12, v20
	v_add_nc_u32_e32 v16, 0x708, v24
	v_mov_b32_e32 v7, v19
	global_store_dword v[1:2], v14, off
	v_mov_b32_e32 v14, v21
	v_lshlrev_b64 v[1:2], 2, v[11:12]
	v_mad_u64_u32 v[11:12], null, s2, v16, 0
	v_mad_u64_u32 v[19:20], null, s3, v26, v[7:8]
	v_mov_b32_e32 v7, v23
	v_add_co_u32 v1, vcc_lo, v56, v1
	v_add_co_ci_u32_e32 v2, vcc_lo, v59, v2, vcc_lo
	v_mad_u64_u32 v[20:21], null, s3, v25, v[7:8]
	v_mov_b32_e32 v7, v12
	v_pack_b32_f16 v21, v17, v15
	v_lshlrev_b64 v[12:13], 2, v[13:14]
	v_lshlrev_b64 v[14:15], 2, v[18:19]
	v_pack_b32_f16 v19, v5, v4
	v_mad_u64_u32 v[16:17], null, s3, v16, v[7:8]
	v_mov_b32_e32 v23, v20
	v_add_co_u32 v17, vcc_lo, v56, v12
	v_add_co_ci_u32_e32 v18, vcc_lo, v59, v13, vcc_lo
	v_lshlrev_b64 v[4:5], 2, v[22:23]
	v_mov_b32_e32 v12, v16
	v_add_co_u32 v13, vcc_lo, v56, v14
	v_add_co_ci_u32_e32 v14, vcc_lo, v59, v15, vcc_lo
	v_lshlrev_b64 v[11:12], 2, v[11:12]
	v_add_co_u32 v3, vcc_lo, v56, v4
	v_add_co_ci_u32_e32 v4, vcc_lo, v59, v5, vcc_lo
	v_pack_b32_f16 v5, v10, v8
	v_add_co_u32 v7, vcc_lo, v56, v11
	v_add_co_ci_u32_e32 v8, vcc_lo, v59, v12, vcc_lo
	v_pack_b32_f16 v6, v9, v6
	global_store_dword v[1:2], v21, off
	global_store_dword v[17:18], v19, off
	;; [unrolled: 1-line block ×5, first 2 shown]
.LBB0_37:
	s_endpgm
	.section	.rodata,"a",@progbits
	.p2align	6, 0x0
	.amdhsa_kernel fft_rtc_back_len2250_factors_10_3_5_3_5_wgs_90_tpt_90_halfLds_half_op_CI_CI_sbrr_dirReg
		.amdhsa_group_segment_fixed_size 0
		.amdhsa_private_segment_fixed_size 0
		.amdhsa_kernarg_size 104
		.amdhsa_user_sgpr_count 6
		.amdhsa_user_sgpr_private_segment_buffer 1
		.amdhsa_user_sgpr_dispatch_ptr 0
		.amdhsa_user_sgpr_queue_ptr 0
		.amdhsa_user_sgpr_kernarg_segment_ptr 1
		.amdhsa_user_sgpr_dispatch_id 0
		.amdhsa_user_sgpr_flat_scratch_init 0
		.amdhsa_user_sgpr_private_segment_size 0
		.amdhsa_wavefront_size32 1
		.amdhsa_uses_dynamic_stack 0
		.amdhsa_system_sgpr_private_segment_wavefront_offset 0
		.amdhsa_system_sgpr_workgroup_id_x 1
		.amdhsa_system_sgpr_workgroup_id_y 0
		.amdhsa_system_sgpr_workgroup_id_z 0
		.amdhsa_system_sgpr_workgroup_info 0
		.amdhsa_system_vgpr_workitem_id 0
		.amdhsa_next_free_vgpr 136
		.amdhsa_next_free_sgpr 31
		.amdhsa_reserve_vcc 1
		.amdhsa_reserve_flat_scratch 0
		.amdhsa_float_round_mode_32 0
		.amdhsa_float_round_mode_16_64 0
		.amdhsa_float_denorm_mode_32 3
		.amdhsa_float_denorm_mode_16_64 3
		.amdhsa_dx10_clamp 1
		.amdhsa_ieee_mode 1
		.amdhsa_fp16_overflow 0
		.amdhsa_workgroup_processor_mode 1
		.amdhsa_memory_ordered 1
		.amdhsa_forward_progress 0
		.amdhsa_shared_vgpr_count 0
		.amdhsa_exception_fp_ieee_invalid_op 0
		.amdhsa_exception_fp_denorm_src 0
		.amdhsa_exception_fp_ieee_div_zero 0
		.amdhsa_exception_fp_ieee_overflow 0
		.amdhsa_exception_fp_ieee_underflow 0
		.amdhsa_exception_fp_ieee_inexact 0
		.amdhsa_exception_int_div_zero 0
	.end_amdhsa_kernel
	.text
.Lfunc_end0:
	.size	fft_rtc_back_len2250_factors_10_3_5_3_5_wgs_90_tpt_90_halfLds_half_op_CI_CI_sbrr_dirReg, .Lfunc_end0-fft_rtc_back_len2250_factors_10_3_5_3_5_wgs_90_tpt_90_halfLds_half_op_CI_CI_sbrr_dirReg
                                        ; -- End function
	.section	.AMDGPU.csdata,"",@progbits
; Kernel info:
; codeLenInByte = 20572
; NumSgprs: 33
; NumVgprs: 136
; ScratchSize: 0
; MemoryBound: 0
; FloatMode: 240
; IeeeMode: 1
; LDSByteSize: 0 bytes/workgroup (compile time only)
; SGPRBlocks: 4
; VGPRBlocks: 16
; NumSGPRsForWavesPerEU: 33
; NumVGPRsForWavesPerEU: 136
; Occupancy: 7
; WaveLimiterHint : 1
; COMPUTE_PGM_RSRC2:SCRATCH_EN: 0
; COMPUTE_PGM_RSRC2:USER_SGPR: 6
; COMPUTE_PGM_RSRC2:TRAP_HANDLER: 0
; COMPUTE_PGM_RSRC2:TGID_X_EN: 1
; COMPUTE_PGM_RSRC2:TGID_Y_EN: 0
; COMPUTE_PGM_RSRC2:TGID_Z_EN: 0
; COMPUTE_PGM_RSRC2:TIDIG_COMP_CNT: 0
	.text
	.p2alignl 6, 3214868480
	.fill 48, 4, 3214868480
	.type	__hip_cuid_5f93d5a37b17d66e,@object ; @__hip_cuid_5f93d5a37b17d66e
	.section	.bss,"aw",@nobits
	.globl	__hip_cuid_5f93d5a37b17d66e
__hip_cuid_5f93d5a37b17d66e:
	.byte	0                               ; 0x0
	.size	__hip_cuid_5f93d5a37b17d66e, 1

	.ident	"AMD clang version 19.0.0git (https://github.com/RadeonOpenCompute/llvm-project roc-6.4.0 25133 c7fe45cf4b819c5991fe208aaa96edf142730f1d)"
	.section	".note.GNU-stack","",@progbits
	.addrsig
	.addrsig_sym __hip_cuid_5f93d5a37b17d66e
	.amdgpu_metadata
---
amdhsa.kernels:
  - .args:
      - .actual_access:  read_only
        .address_space:  global
        .offset:         0
        .size:           8
        .value_kind:     global_buffer
      - .offset:         8
        .size:           8
        .value_kind:     by_value
      - .actual_access:  read_only
        .address_space:  global
        .offset:         16
        .size:           8
        .value_kind:     global_buffer
      - .actual_access:  read_only
        .address_space:  global
        .offset:         24
        .size:           8
        .value_kind:     global_buffer
      - .actual_access:  read_only
        .address_space:  global
        .offset:         32
        .size:           8
        .value_kind:     global_buffer
      - .offset:         40
        .size:           8
        .value_kind:     by_value
      - .actual_access:  read_only
        .address_space:  global
        .offset:         48
        .size:           8
        .value_kind:     global_buffer
      - .actual_access:  read_only
        .address_space:  global
        .offset:         56
        .size:           8
        .value_kind:     global_buffer
      - .offset:         64
        .size:           4
        .value_kind:     by_value
      - .actual_access:  read_only
        .address_space:  global
        .offset:         72
        .size:           8
        .value_kind:     global_buffer
      - .actual_access:  read_only
        .address_space:  global
        .offset:         80
        .size:           8
        .value_kind:     global_buffer
      - .actual_access:  read_only
        .address_space:  global
        .offset:         88
        .size:           8
        .value_kind:     global_buffer
      - .actual_access:  write_only
        .address_space:  global
        .offset:         96
        .size:           8
        .value_kind:     global_buffer
    .group_segment_fixed_size: 0
    .kernarg_segment_align: 8
    .kernarg_segment_size: 104
    .language:       OpenCL C
    .language_version:
      - 2
      - 0
    .max_flat_workgroup_size: 90
    .name:           fft_rtc_back_len2250_factors_10_3_5_3_5_wgs_90_tpt_90_halfLds_half_op_CI_CI_sbrr_dirReg
    .private_segment_fixed_size: 0
    .sgpr_count:     33
    .sgpr_spill_count: 0
    .symbol:         fft_rtc_back_len2250_factors_10_3_5_3_5_wgs_90_tpt_90_halfLds_half_op_CI_CI_sbrr_dirReg.kd
    .uniform_work_group_size: 1
    .uses_dynamic_stack: false
    .vgpr_count:     136
    .vgpr_spill_count: 0
    .wavefront_size: 32
    .workgroup_processor_mode: 1
amdhsa.target:   amdgcn-amd-amdhsa--gfx1030
amdhsa.version:
  - 1
  - 2
...

	.end_amdgpu_metadata
